;; amdgpu-corpus repo=ROCm/rocFFT kind=compiled arch=gfx906 opt=O3
	.text
	.amdgcn_target "amdgcn-amd-amdhsa--gfx906"
	.amdhsa_code_object_version 6
	.protected	fft_rtc_back_len1156_factors_17_2_17_2_wgs_204_tpt_68_halfLds_half_ip_CI_sbrr_dirReg ; -- Begin function fft_rtc_back_len1156_factors_17_2_17_2_wgs_204_tpt_68_halfLds_half_ip_CI_sbrr_dirReg
	.globl	fft_rtc_back_len1156_factors_17_2_17_2_wgs_204_tpt_68_halfLds_half_ip_CI_sbrr_dirReg
	.p2align	8
	.type	fft_rtc_back_len1156_factors_17_2_17_2_wgs_204_tpt_68_halfLds_half_ip_CI_sbrr_dirReg,@function
fft_rtc_back_len1156_factors_17_2_17_2_wgs_204_tpt_68_halfLds_half_ip_CI_sbrr_dirReg: ; @fft_rtc_back_len1156_factors_17_2_17_2_wgs_204_tpt_68_halfLds_half_ip_CI_sbrr_dirReg
; %bb.0:
	s_load_dwordx2 s[2:3], s[4:5], 0x18
	s_load_dwordx4 s[8:11], s[4:5], 0x0
	s_load_dwordx2 s[14:15], s[4:5], 0x50
	v_mul_u32_u24_e32 v1, 0x3c4, v0
	v_lshrrev_b32_e32 v1, 16, v1
	s_waitcnt lgkmcnt(0)
	s_load_dwordx2 s[12:13], s[2:3], 0x0
	v_mad_u64_u32 v[2:3], s[0:1], s6, 3, v[1:2]
	v_mov_b32_e32 v6, 0
	v_cmp_lt_u64_e64 s[0:1], s[10:11], 2
	v_mov_b32_e32 v3, v6
	v_mov_b32_e32 v4, 0
	;; [unrolled: 1-line block ×3, first 2 shown]
	s_and_b64 vcc, exec, s[0:1]
	v_mov_b32_e32 v5, 0
	v_mov_b32_e32 v10, v2
	s_cbranch_vccnz .LBB0_8
; %bb.1:
	s_load_dwordx2 s[0:1], s[4:5], 0x10
	s_add_u32 s6, s2, 8
	s_addc_u32 s7, s3, 0
	v_mov_b32_e32 v4, 0
	v_mov_b32_e32 v9, v3
	s_waitcnt lgkmcnt(0)
	s_add_u32 s18, s0, 8
	s_mov_b64 s[16:17], 1
	v_mov_b32_e32 v5, 0
	s_addc_u32 s19, s1, 0
	v_mov_b32_e32 v8, v2
.LBB0_2:                                ; =>This Inner Loop Header: Depth=1
	s_load_dwordx2 s[20:21], s[18:19], 0x0
                                        ; implicit-def: $vgpr10_vgpr11
	s_waitcnt lgkmcnt(0)
	v_or_b32_e32 v7, s21, v9
	v_cmp_ne_u64_e32 vcc, 0, v[6:7]
	s_and_saveexec_b64 s[0:1], vcc
	s_xor_b64 s[22:23], exec, s[0:1]
	s_cbranch_execz .LBB0_4
; %bb.3:                                ;   in Loop: Header=BB0_2 Depth=1
	v_cvt_f32_u32_e32 v1, s20
	v_cvt_f32_u32_e32 v3, s21
	s_sub_u32 s0, 0, s20
	s_subb_u32 s1, 0, s21
	v_mac_f32_e32 v1, 0x4f800000, v3
	v_rcp_f32_e32 v1, v1
	v_mul_f32_e32 v1, 0x5f7ffffc, v1
	v_mul_f32_e32 v3, 0x2f800000, v1
	v_trunc_f32_e32 v3, v3
	v_mac_f32_e32 v1, 0xcf800000, v3
	v_cvt_u32_f32_e32 v3, v3
	v_cvt_u32_f32_e32 v1, v1
	v_mul_lo_u32 v7, s0, v3
	v_mul_hi_u32 v10, s0, v1
	v_mul_lo_u32 v12, s1, v1
	v_mul_lo_u32 v11, s0, v1
	v_add_u32_e32 v7, v10, v7
	v_add_u32_e32 v7, v7, v12
	v_mul_hi_u32 v10, v1, v11
	v_mul_lo_u32 v12, v1, v7
	v_mul_hi_u32 v14, v1, v7
	v_mul_hi_u32 v13, v3, v11
	v_mul_lo_u32 v11, v3, v11
	v_mul_hi_u32 v15, v3, v7
	v_add_co_u32_e32 v10, vcc, v10, v12
	v_addc_co_u32_e32 v12, vcc, 0, v14, vcc
	v_mul_lo_u32 v7, v3, v7
	v_add_co_u32_e32 v10, vcc, v10, v11
	v_addc_co_u32_e32 v10, vcc, v12, v13, vcc
	v_addc_co_u32_e32 v11, vcc, 0, v15, vcc
	v_add_co_u32_e32 v7, vcc, v10, v7
	v_addc_co_u32_e32 v10, vcc, 0, v11, vcc
	v_add_co_u32_e32 v1, vcc, v1, v7
	v_addc_co_u32_e32 v3, vcc, v3, v10, vcc
	v_mul_lo_u32 v7, s0, v3
	v_mul_hi_u32 v10, s0, v1
	v_mul_lo_u32 v11, s1, v1
	v_mul_lo_u32 v12, s0, v1
	v_add_u32_e32 v7, v10, v7
	v_add_u32_e32 v7, v7, v11
	v_mul_lo_u32 v13, v1, v7
	v_mul_hi_u32 v14, v1, v12
	v_mul_hi_u32 v15, v1, v7
	;; [unrolled: 1-line block ×3, first 2 shown]
	v_mul_lo_u32 v12, v3, v12
	v_mul_hi_u32 v10, v3, v7
	v_add_co_u32_e32 v13, vcc, v14, v13
	v_addc_co_u32_e32 v14, vcc, 0, v15, vcc
	v_mul_lo_u32 v7, v3, v7
	v_add_co_u32_e32 v12, vcc, v13, v12
	v_addc_co_u32_e32 v11, vcc, v14, v11, vcc
	v_addc_co_u32_e32 v10, vcc, 0, v10, vcc
	v_add_co_u32_e32 v7, vcc, v11, v7
	v_addc_co_u32_e32 v10, vcc, 0, v10, vcc
	v_add_co_u32_e32 v1, vcc, v1, v7
	v_addc_co_u32_e32 v3, vcc, v3, v10, vcc
	v_mad_u64_u32 v[10:11], s[0:1], v8, v3, 0
	v_mul_hi_u32 v7, v8, v1
	v_mad_u64_u32 v[12:13], s[0:1], v9, v3, 0
	v_add_co_u32_e32 v7, vcc, v7, v10
	v_addc_co_u32_e32 v14, vcc, 0, v11, vcc
	v_mad_u64_u32 v[10:11], s[0:1], v9, v1, 0
	v_add_co_u32_e32 v1, vcc, v7, v10
	v_addc_co_u32_e32 v1, vcc, v14, v11, vcc
	v_addc_co_u32_e32 v3, vcc, 0, v13, vcc
	v_add_co_u32_e32 v1, vcc, v1, v12
	v_addc_co_u32_e32 v3, vcc, 0, v3, vcc
	v_mul_lo_u32 v7, s21, v1
	v_mul_lo_u32 v12, s20, v3
	v_mad_u64_u32 v[10:11], s[0:1], s20, v1, 0
	v_add3_u32 v7, v11, v12, v7
	v_sub_u32_e32 v11, v9, v7
	v_mov_b32_e32 v12, s21
	v_sub_co_u32_e32 v10, vcc, v8, v10
	v_subb_co_u32_e64 v11, s[0:1], v11, v12, vcc
	v_subrev_co_u32_e64 v12, s[0:1], s20, v10
	v_subbrev_co_u32_e64 v11, s[0:1], 0, v11, s[0:1]
	v_cmp_le_u32_e64 s[0:1], s21, v11
	v_cndmask_b32_e64 v13, 0, -1, s[0:1]
	v_cmp_le_u32_e64 s[0:1], s20, v12
	v_cndmask_b32_e64 v12, 0, -1, s[0:1]
	v_cmp_eq_u32_e64 s[0:1], s21, v11
	v_cndmask_b32_e64 v11, v13, v12, s[0:1]
	v_add_co_u32_e64 v12, s[0:1], 2, v1
	v_addc_co_u32_e64 v13, s[0:1], 0, v3, s[0:1]
	v_add_co_u32_e64 v14, s[0:1], 1, v1
	v_addc_co_u32_e64 v15, s[0:1], 0, v3, s[0:1]
	v_subb_co_u32_e32 v7, vcc, v9, v7, vcc
	v_cmp_ne_u32_e64 s[0:1], 0, v11
	v_cmp_le_u32_e32 vcc, s21, v7
	v_cndmask_b32_e64 v11, v15, v13, s[0:1]
	v_cndmask_b32_e64 v13, 0, -1, vcc
	v_cmp_le_u32_e32 vcc, s20, v10
	v_cndmask_b32_e64 v10, 0, -1, vcc
	v_cmp_eq_u32_e32 vcc, s21, v7
	v_cndmask_b32_e32 v7, v13, v10, vcc
	v_cmp_ne_u32_e32 vcc, 0, v7
	v_cndmask_b32_e32 v11, v3, v11, vcc
	v_cndmask_b32_e64 v3, v14, v12, s[0:1]
	v_cndmask_b32_e32 v10, v1, v3, vcc
.LBB0_4:                                ;   in Loop: Header=BB0_2 Depth=1
	s_andn2_saveexec_b64 s[0:1], s[22:23]
	s_cbranch_execz .LBB0_6
; %bb.5:                                ;   in Loop: Header=BB0_2 Depth=1
	v_cvt_f32_u32_e32 v1, s20
	s_sub_i32 s22, 0, s20
	v_mov_b32_e32 v11, v6
	v_rcp_iflag_f32_e32 v1, v1
	v_mul_f32_e32 v1, 0x4f7ffffe, v1
	v_cvt_u32_f32_e32 v1, v1
	v_mul_lo_u32 v3, s22, v1
	v_mul_hi_u32 v3, v1, v3
	v_add_u32_e32 v1, v1, v3
	v_mul_hi_u32 v1, v8, v1
	v_mul_lo_u32 v3, v1, s20
	v_add_u32_e32 v7, 1, v1
	v_sub_u32_e32 v3, v8, v3
	v_subrev_u32_e32 v10, s20, v3
	v_cmp_le_u32_e32 vcc, s20, v3
	v_cndmask_b32_e32 v3, v3, v10, vcc
	v_cndmask_b32_e32 v1, v1, v7, vcc
	v_add_u32_e32 v7, 1, v1
	v_cmp_le_u32_e32 vcc, s20, v3
	v_cndmask_b32_e32 v10, v1, v7, vcc
.LBB0_6:                                ;   in Loop: Header=BB0_2 Depth=1
	s_or_b64 exec, exec, s[0:1]
	v_mul_lo_u32 v1, v11, s20
	v_mul_lo_u32 v3, v10, s21
	v_mad_u64_u32 v[12:13], s[0:1], v10, s20, 0
	s_load_dwordx2 s[0:1], s[6:7], 0x0
	s_add_u32 s16, s16, 1
	v_add3_u32 v1, v13, v3, v1
	v_sub_co_u32_e32 v3, vcc, v8, v12
	v_subb_co_u32_e32 v1, vcc, v9, v1, vcc
	s_waitcnt lgkmcnt(0)
	v_mul_lo_u32 v1, s0, v1
	v_mul_lo_u32 v7, s1, v3
	v_mad_u64_u32 v[4:5], s[0:1], s0, v3, v[4:5]
	s_addc_u32 s17, s17, 0
	s_add_u32 s6, s6, 8
	v_add3_u32 v5, v7, v5, v1
	v_mov_b32_e32 v7, s10
	v_mov_b32_e32 v8, s11
	s_addc_u32 s7, s7, 0
	v_cmp_ge_u64_e32 vcc, s[16:17], v[7:8]
	s_add_u32 s18, s18, 8
	s_addc_u32 s19, s19, 0
	s_cbranch_vccnz .LBB0_8
; %bb.7:                                ;   in Loop: Header=BB0_2 Depth=1
	v_mov_b32_e32 v8, v10
	v_mov_b32_e32 v9, v11
	s_branch .LBB0_2
.LBB0_8:
	s_lshl_b64 s[0:1], s[10:11], 3
	s_add_u32 s0, s2, s0
	s_addc_u32 s1, s3, s1
	s_load_dwordx2 s[2:3], s[0:1], 0x0
	s_load_dwordx2 s[6:7], s[4:5], 0x20
                                        ; implicit-def: $sgpr4
                                        ; implicit-def: $vgpr7
                                        ; implicit-def: $vgpr8
                                        ; implicit-def: $vgpr9
	s_waitcnt lgkmcnt(0)
	v_mad_u64_u32 v[3:4], s[0:1], s2, v10, v[4:5]
	s_mov_b32 s0, 0x3c3c3c4
	v_mul_lo_u32 v1, s2, v11
	v_mul_lo_u32 v6, s3, v10
	v_mul_hi_u32 v5, v0, s0
	v_cmp_gt_u64_e32 vcc, s[6:7], v[10:11]
	v_cmp_le_u64_e64 s[0:1], s[6:7], v[10:11]
	v_add3_u32 v4, v6, v4, v1
	v_mul_u32_u24_e32 v1, 0x44, v5
	v_sub_u32_e32 v0, v0, v1
                                        ; implicit-def: $vgpr5
                                        ; implicit-def: $vgpr6
                                        ; implicit-def: $vgpr10
                                        ; implicit-def: $vgpr1
                                        ; implicit-def: $vgpr11
	s_and_saveexec_b64 s[2:3], s[0:1]
	s_xor_b64 s[0:1], exec, s[2:3]
; %bb.9:
	v_add_u32_e32 v5, 0x44, v0
	v_add_u32_e32 v6, 0x88, v0
	;; [unrolled: 1-line block ×8, first 2 shown]
	s_mov_b32 s4, 0
; %bb.10:
	s_or_saveexec_b64 s[2:3], s[0:1]
	v_lshlrev_b64 v[3:4], 2, v[3:4]
	v_mov_b32_e32 v12, s4
                                        ; implicit-def: $vgpr35
                                        ; implicit-def: $vgpr14
                                        ; implicit-def: $vgpr36
                                        ; implicit-def: $vgpr15
                                        ; implicit-def: $vgpr38
                                        ; implicit-def: $vgpr24
                                        ; implicit-def: $vgpr39
                                        ; implicit-def: $vgpr25
                                        ; implicit-def: $vgpr40
                                        ; implicit-def: $vgpr26
                                        ; implicit-def: $vgpr41
                                        ; implicit-def: $vgpr27
                                        ; implicit-def: $vgpr42
                                        ; implicit-def: $vgpr28
                                        ; implicit-def: $vgpr44
                                        ; implicit-def: $vgpr29
                                        ; implicit-def: $vgpr45
                                        ; implicit-def: $vgpr30
                                        ; implicit-def: $vgpr46
                                        ; implicit-def: $vgpr31
                                        ; implicit-def: $vgpr47
                                        ; implicit-def: $vgpr32
                                        ; implicit-def: $vgpr48
                                        ; implicit-def: $vgpr33
                                        ; implicit-def: $vgpr50
                                        ; implicit-def: $vgpr34
                                        ; implicit-def: $vgpr52
                                        ; implicit-def: $vgpr37
                                        ; implicit-def: $vgpr54
                                        ; implicit-def: $vgpr43
                                        ; implicit-def: $vgpr55
                                        ; implicit-def: $vgpr49
	s_xor_b64 exec, exec, s[2:3]
	s_cbranch_execz .LBB0_12
; %bb.11:
	v_mad_u64_u32 v[6:7], s[0:1], s12, v0, 0
	v_add_u32_e32 v5, 0x44, v0
	v_mov_b32_e32 v10, s15
	v_mov_b32_e32 v1, v7
	v_mad_u64_u32 v[7:8], s[0:1], s13, v0, v[1:2]
	v_mad_u64_u32 v[8:9], s[0:1], s12, v5, 0
	v_add_co_u32_e64 v42, s[0:1], s14, v3
	v_mov_b32_e32 v1, v9
	v_addc_co_u32_e64 v56, s[0:1], v10, v4, s[0:1]
	v_lshlrev_b64 v[10:11], 2, v[6:7]
	v_mad_u64_u32 v[12:13], s[0:1], s13, v5, v[1:2]
	v_add_u32_e32 v6, 0x88, v0
	v_mad_u64_u32 v[13:14], s[0:1], s12, v6, 0
	v_add_co_u32_e64 v16, s[0:1], v42, v10
	v_mov_b32_e32 v1, v14
	v_addc_co_u32_e64 v17, s[0:1], v56, v11, s[0:1]
	v_mad_u64_u32 v[10:11], s[0:1], s13, v6, v[1:2]
	v_add_u32_e32 v7, 0xcc, v0
	v_mov_b32_e32 v9, v12
	v_mad_u64_u32 v[11:12], s[0:1], s12, v7, 0
	v_lshlrev_b64 v[8:9], 2, v[8:9]
	v_mov_b32_e32 v14, v10
	v_add_co_u32_e64 v18, s[0:1], v42, v8
	v_mov_b32_e32 v1, v12
	v_addc_co_u32_e64 v19, s[0:1], v56, v9, s[0:1]
	v_lshlrev_b64 v[9:10], 2, v[13:14]
	v_mad_u64_u32 v[12:13], s[0:1], s13, v7, v[1:2]
	v_add_u32_e32 v8, 0x110, v0
	v_mad_u64_u32 v[13:14], s[0:1], s12, v8, 0
	v_add_co_u32_e64 v20, s[0:1], v42, v9
	v_add_u32_e32 v9, 0x154, v0
	v_addc_co_u32_e64 v21, s[0:1], v56, v10, s[0:1]
	v_mov_b32_e32 v1, v14
	v_mad_u64_u32 v[22:23], s[0:1], s12, v9, 0
	v_mad_u64_u32 v[14:15], s[0:1], s13, v8, v[1:2]
	v_lshlrev_b64 v[10:11], 2, v[11:12]
	v_mov_b32_e32 v1, v23
	v_add_co_u32_e64 v29, s[0:1], v42, v10
	v_addc_co_u32_e64 v30, s[0:1], v56, v11, s[0:1]
	v_lshlrev_b64 v[11:12], 2, v[13:14]
	v_mad_u64_u32 v[13:14], s[0:1], s13, v9, v[1:2]
	v_add_u32_e32 v10, 0x198, v0
	v_mad_u64_u32 v[14:15], s[0:1], s12, v10, 0
	v_add_co_u32_e64 v31, s[0:1], v42, v11
	v_mov_b32_e32 v23, v13
	v_mov_b32_e32 v1, v15
	v_addc_co_u32_e64 v32, s[0:1], v56, v12, s[0:1]
	v_lshlrev_b64 v[11:12], 2, v[22:23]
	v_mad_u64_u32 v[22:23], s[0:1], s13, v10, v[1:2]
	v_add_u32_e32 v1, 0x1dc, v0
	v_mad_u64_u32 v[23:24], s[0:1], s12, v1, 0
	v_add_co_u32_e64 v33, s[0:1], v42, v11
	v_mov_b32_e32 v15, v22
	v_addc_co_u32_e64 v34, s[0:1], v56, v12, s[0:1]
	v_lshlrev_b64 v[12:13], 2, v[14:15]
	v_mov_b32_e32 v11, v24
	v_mad_u64_u32 v[14:15], s[0:1], s13, v1, v[11:12]
	v_add_u32_e32 v11, 0x220, v0
	v_mad_u64_u32 v[25:26], s[0:1], s12, v11, 0
	v_add_co_u32_e64 v12, s[0:1], v42, v12
	v_mov_b32_e32 v24, v14
	v_mov_b32_e32 v22, v26
	v_addc_co_u32_e64 v13, s[0:1], v56, v13, s[0:1]
	v_lshlrev_b64 v[14:15], 2, v[23:24]
	v_mad_u64_u32 v[22:23], s[0:1], s13, v11, v[22:23]
	v_add_u32_e32 v27, 0x264, v0
	v_mad_u64_u32 v[23:24], s[0:1], s12, v27, 0
	v_add_co_u32_e64 v35, s[0:1], v42, v14
	v_mov_b32_e32 v26, v22
	v_mov_b32_e32 v22, v24
	v_addc_co_u32_e64 v36, s[0:1], v56, v15, s[0:1]
	v_lshlrev_b64 v[14:15], 2, v[25:26]
	v_mad_u64_u32 v[24:25], s[0:1], s13, v27, v[22:23]
	v_add_u32_e32 v27, 0x2a8, v0
	v_mad_u64_u32 v[25:26], s[0:1], s12, v27, 0
	v_add_co_u32_e64 v38, s[0:1], v42, v14
	v_mov_b32_e32 v22, v26
	v_addc_co_u32_e64 v39, s[0:1], v56, v15, s[0:1]
	v_lshlrev_b64 v[14:15], 2, v[23:24]
	v_mad_u64_u32 v[22:23], s[0:1], s13, v27, v[22:23]
	v_add_u32_e32 v27, 0x2ec, v0
	v_mad_u64_u32 v[23:24], s[0:1], s12, v27, 0
	v_add_co_u32_e64 v40, s[0:1], v42, v14
	v_mov_b32_e32 v26, v22
	v_mov_b32_e32 v22, v24
	v_addc_co_u32_e64 v41, s[0:1], v56, v15, s[0:1]
	v_lshlrev_b64 v[14:15], 2, v[25:26]
	v_mad_u64_u32 v[24:25], s[0:1], s13, v27, v[22:23]
	v_add_u32_e32 v27, 0x330, v0
	v_mad_u64_u32 v[25:26], s[0:1], s12, v27, 0
	v_add_co_u32_e64 v44, s[0:1], v42, v14
	;; [unrolled: 15-line block ×3, first 2 shown]
	v_mov_b32_e32 v22, v26
	v_addc_co_u32_e64 v49, s[0:1], v56, v15, s[0:1]
	v_lshlrev_b64 v[14:15], 2, v[23:24]
	v_mad_u64_u32 v[22:23], s[0:1], s13, v27, v[22:23]
	v_add_u32_e32 v27, 0x3fc, v0
	v_mad_u64_u32 v[23:24], s[0:1], s12, v27, 0
	v_add_co_u32_e64 v50, s[0:1], v42, v14
	v_mov_b32_e32 v26, v22
	v_mov_b32_e32 v22, v24
	v_addc_co_u32_e64 v51, s[0:1], v56, v15, s[0:1]
	v_lshlrev_b64 v[14:15], 2, v[25:26]
	v_mad_u64_u32 v[24:25], s[0:1], s13, v27, v[22:23]
	v_add_co_u32_e64 v52, s[0:1], v42, v14
	v_addc_co_u32_e64 v53, s[0:1], v56, v15, s[0:1]
	v_lshlrev_b64 v[14:15], 2, v[23:24]
	v_add_u32_e32 v37, 0x440, v0
	v_add_co_u32_e64 v22, s[0:1], v42, v14
	v_addc_co_u32_e64 v23, s[0:1], v56, v15, s[0:1]
	v_mad_u64_u32 v[54:55], s[0:1], s12, v37, 0
	global_load_dword v14, v[18:19], off
	global_load_dword v15, v[20:21], off
	;; [unrolled: 1-line block ×7, first 2 shown]
	v_mov_b32_e32 v12, v55
	v_mad_u64_u32 v[12:13], s[0:1], s13, v37, v[12:13]
	global_load_dword v29, v[38:39], off
	global_load_dword v30, v[40:41], off
	;; [unrolled: 1-line block ×8, first 2 shown]
	v_mov_b32_e32 v55, v12
	v_lshlrev_b64 v[12:13], 2, v[54:55]
	v_add_co_u32_e64 v18, s[0:1], v42, v12
	v_addc_co_u32_e64 v19, s[0:1], v56, v13, s[0:1]
	global_load_dword v49, v[18:19], off
	global_load_dword v12, v[16:17], off
	s_waitcnt vmcnt(16)
	v_lshrrev_b32_e32 v35, 16, v14
	s_waitcnt vmcnt(15)
	v_lshrrev_b32_e32 v36, 16, v15
	;; [unrolled: 2-line block ×16, first 2 shown]
.LBB0_12:
	s_or_b64 exec, exec, s[2:3]
	s_mov_b32 s0, 0xaaaaaaab
	v_mul_hi_u32 v13, v2, s0
	v_sub_f16_e32 v19, v35, v55
	s_mov_b32 s28, 0xb964b5c8
	v_add_f16_e32 v20, v14, v49
	v_lshrrev_b32_e32 v13, 1, v13
	v_lshl_add_u32 v13, v13, 1, v13
	v_sub_u32_e32 v2, v2, v13
	v_sub_f16_e32 v13, v36, v54
	s_mov_b32 s4, 0x39e93b76
	v_pk_mul_f16 v23, v19, s28 op_sel_hi:[0,1]
	s_mov_b32 s33, 0xbbf7b964
	v_add_f16_e32 v21, v15, v43
	v_pk_fma_f16 v16, v20, s4, v23 op_sel_hi:[0,1,1]
	s_mov_b32 s5, 0x2de839e9
	v_pk_mul_f16 v51, v13, s33 op_sel_hi:[0,1]
	v_sub_f16_e32 v53, v38, v52
	s_mov_b32 s37, 0xba62bb29
	v_add_f16_e32 v22, v24, v37
	s_waitcnt vmcnt(0)
	v_pk_add_f16 v16, v16, v12 op_sel_hi:[1,0]
	v_pk_fma_f16 v17, v21, s5, v51 op_sel_hi:[0,1,1]
	s_mov_b32 s6, 0xb8d23722
	v_pk_mul_f16 v56, v53, s37 op_sel_hi:[0,1]
	s_mov_b32 s40, 0xb1e1bbf7
	v_sub_f16_e32 v58, v39, v50
	v_pk_add_f16 v16, v17, v16
	v_pk_fma_f16 v17, v22, s6, v56 op_sel_hi:[0,1,1]
	s_mov_b32 s10, 0xbbdd2de8
	v_add_f16_e32 v57, v25, v34
	v_pk_mul_f16 v59, v58, s40 op_sel_hi:[0,1]
	s_mov_b32 s45, 0x3836bbb2
	v_sub_f16_e32 v61, v40, v48
	v_pk_add_f16 v16, v17, v16
	v_pk_fma_f16 v17, v57, s10, v59 op_sel_hi:[0,1,1]
	s_mov_b32 s16, 0xbacdb461
	v_add_f16_e32 v60, v26, v33
	;; [unrolled: 7-line block ×4, first 2 shown]
	v_pk_mul_f16 v68, v67, s57 op_sel_hi:[0,1]
	s_mov_b32 s42, 0xbbf7bb29
	v_pk_add_f16 v16, v17, v16
	v_pk_fma_f16 v17, v66, s29, v68 op_sel_hi:[0,1,1]
	s_mov_b32 s7, 0x2de83722
	v_pk_mul_f16 v69, v19, s42 op_sel_hi:[0,1]
	s_mov_b32 s46, 0xb1e1ba62
	v_pk_add_f16 v16, v17, v16
	v_pk_fma_f16 v17, v20, s7, v69 op_sel_hi:[0,1,1]
	s_mov_b32 s11, 0xbbddb8d2
	v_pk_mul_f16 v70, v13, s46 op_sel_hi:[0,1]
	s_mov_b32 s49, 0x3bb231e1
	v_pk_add_f16 v17, v17, v12 op_sel_hi:[1,0]
	v_pk_fma_f16 v18, v21, s11, v70 op_sel_hi:[0,1,1]
	s_mov_b32 s17, 0xb461bbdd
	v_pk_mul_f16 v71, v53, s49 op_sel_hi:[0,1]
	s_mov_b32 s51, 0x35c83bb2
	v_pk_add_f16 v17, v18, v17
	v_pk_fma_f16 v18, v22, s17, v71 op_sel_hi:[0,1,1]
	s_mov_b32 s20, 0x3b76b461
	v_pk_mul_f16 v72, v58, s51 op_sel_hi:[0,1]
	s_mov_b32 s54, 0xbb293964
	v_pk_add_f16 v17, v18, v17
	;; [unrolled: 5-line block ×4, first 2 shown]
	v_pk_fma_f16 v18, v63, s27, v75 op_sel_hi:[0,1,1]
	s_mov_b32 s34, 0xb8d22de8
	v_pk_mul_f16 v76, v67, s61 op_sel_hi:[0,1]
	s_mov_b32 s66, 0x3964b836
	v_sub_f16_e32 v73, v44, v45
	v_pk_add_f16 v17, v18, v17
	v_pk_fma_f16 v18, v66, s34, v76 op_sel_hi:[0,1,1]
	s_mov_b32 s74, 0x35c8b1e1
	s_mov_b32 s41, 0x39e9bacd
	v_add_f16_e32 v77, v29, v30
	v_pk_mul_f16 v79, v73, s66 op_sel_hi:[0,1]
	v_pk_add_f16 v17, v18, v17
	s_mov_b32 s73, 0x3b76bbdd
	v_pk_mul_f16 v78, v73, s74 op_sel_hi:[0,1]
	v_pk_fma_f16 v80, v77, s41, v79 op_sel_hi:[0,1,1]
	s_mov_b32 s52, 0xba62bbb2
	v_pk_fma_f16 v18, v77, s73, v78 op_sel_hi:[0,1,1]
	v_pk_add_f16 v17, v80, v17
	s_mov_b32 s18, 0xb8d2b461
	v_pk_mul_f16 v80, v19, s52 op_sel_hi:[0,1]
	s_mov_b32 s55, 0x3bb23836
	v_pk_add_f16 v16, v18, v16
	v_pk_fma_f16 v18, v20, s18, v80 op_sel_hi:[0,1,1]
	s_mov_b32 s21, 0xb461bacd
	v_pk_mul_f16 v81, v13, s55 op_sel_hi:[0,1]
	v_pk_add_f16 v18, v18, v12 op_sel_hi:[1,0]
	v_pk_fma_f16 v82, v21, s21, v81 op_sel_hi:[0,1,1]
	s_mov_b32 s59, 0xb5c83964
	v_pk_add_f16 v18, v82, v18
	s_mov_b32 s25, 0x3b7639e9
	v_pk_mul_f16 v82, v53, s59 op_sel_hi:[0,1]
	v_pk_fma_f16 v83, v22, s25, v82 op_sel_hi:[0,1,1]
	s_mov_b32 s62, 0xb836bb29
	v_pk_add_f16 v18, v83, v18
	s_mov_b32 s30, 0xbacd3722
	v_pk_mul_f16 v83, v58, s62 op_sel_hi:[0,1]
	;; [unrolled: 5-line block ×4, first 2 shown]
	v_pk_fma_f16 v86, v63, s38, v85 op_sel_hi:[0,1,1]
	s_mov_b32 s69, 0xb1e1b5c8
	v_mul_u32_u24_e32 v90, 0x484, v2
	v_add_f16_e32 v2, v14, v12
	v_pk_add_f16 v18, v86, v18
	s_mov_b32 s43, 0xbbdd3b76
	v_pk_mul_f16 v86, v67, s69 op_sel_hi:[0,1]
	v_add_f16_e32 v2, v15, v2
	v_pk_fma_f16 v87, v66, s43, v86 op_sel_hi:[0,1,1]
	s_mov_b32 s71, 0x3b29ba62
	v_add_f16_e32 v2, v24, v2
	v_pk_add_f16 v18, v87, v18
	s_mov_b32 s47, 0x3722b8d2
	v_pk_mul_f16 v87, v73, s71 op_sel_hi:[0,1]
	v_add_f16_e32 v2, v25, v2
	v_pk_fma_f16 v88, v77, s47, v87 op_sel_hi:[0,1,1]
	s_mov_b32 s53, 0xb1e1b836
	v_add_f16_e32 v2, v26, v2
	v_pk_add_f16 v18, v88, v18
	s_mov_b32 s19, 0xbbddbacd
	v_pk_mul_f16 v88, v19, s53 op_sel_hi:[0,1]
	s_mov_b32 s56, 0x35c83b29
	v_add_f16_e32 v2, v27, v2
	v_pk_fma_f16 v19, v20, s19, v88 op_sel_hi:[0,1,1]
	s_mov_b32 s22, 0x3b763722
	v_pk_mul_f16 v13, v13, s56 op_sel_hi:[0,1]
	s_mov_b32 s60, 0xb836bbf7
	v_add_f16_e32 v2, v28, v2
	v_pk_add_f16 v19, v19, v12 op_sel_hi:[1,0]
	v_pk_fma_f16 v89, v21, s22, v13 op_sel_hi:[0,1,1]
	s_mov_b32 s26, 0xbacd2de8
	v_pk_mul_f16 v53, v53, s60 op_sel_hi:[0,1]
	s_mov_b32 s63, 0x39643a62
	v_add_f16_e32 v2, v29, v2
	v_pk_add_f16 v19, v89, v19
	v_pk_fma_f16 v89, v22, s26, v53 op_sel_hi:[0,1,1]
	s_mov_b32 s31, 0x39e9b8d2
	v_pk_mul_f16 v58, v58, s63 op_sel_hi:[0,1]
	s_mov_b32 s65, 0xba62b5c8
	v_add_f16_e32 v2, v30, v2
	v_pk_add_f16 v19, v89, v19
	;; [unrolled: 6-line block ×4, first 2 shown]
	v_pk_fma_f16 v89, v63, s39, v64 op_sel_hi:[0,1,1]
	s_mov_b32 s44, 0xb46139e9
	v_pk_mul_f16 v67, v67, s70 op_sel_hi:[0,1]
	v_add_f16_e32 v2, v33, v2
	v_pk_add_f16 v19, v89, v19
	v_pk_fma_f16 v89, v66, s44, v67 op_sel_hi:[0,1,1]
	s_mov_b32 s72, 0x3bf7bbb2
	v_add_f16_e32 v2, v34, v2
	v_pk_add_f16 v19, v89, v19
	s_mov_b32 s48, 0x2de8b461
	v_pk_mul_f16 v89, v73, s72 op_sel_hi:[0,1]
	v_add_f16_e32 v2, v37, v2
	v_pk_fma_f16 v73, v77, s48, v89 op_sel_hi:[0,1,1]
	v_lshl_add_u32 v91, v90, 1, 0
	v_add_f16_e32 v2, v43, v2
	v_pk_add_f16 v19, v73, v19
	v_mad_u32_u24 v73, v0, 34, v91
	v_add_f16_e32 v2, v49, v2
	ds_write_b16 v73, v2
	v_pk_fma_f16 v2, v20, s19, v88 op_sel_hi:[0,1,1] neg_lo:[0,0,1] neg_hi:[0,0,1]
	v_pk_add_f16 v2, v2, v12 op_sel_hi:[1,0]
	v_pk_fma_f16 v13, v21, s22, v13 op_sel_hi:[0,1,1] neg_lo:[0,0,1] neg_hi:[0,0,1]
	v_pk_add_f16 v2, v13, v2
	v_pk_fma_f16 v13, v22, s26, v53 op_sel_hi:[0,1,1] neg_lo:[0,0,1] neg_hi:[0,0,1]
	v_pk_add_f16 v2, v13, v2
	;; [unrolled: 2-line block ×7, first 2 shown]
	v_pk_fma_f16 v13, v20, s18, v80 op_sel_hi:[0,1,1] neg_lo:[0,0,1] neg_hi:[0,0,1]
	ds_write_b128 v73, v[16:19] offset:2
	v_pk_add_f16 v13, v13, v12 op_sel_hi:[1,0]
	v_pk_fma_f16 v16, v21, s21, v81 op_sel_hi:[0,1,1] neg_lo:[0,0,1] neg_hi:[0,0,1]
	v_pk_add_f16 v13, v16, v13
	v_pk_fma_f16 v16, v22, s25, v82 op_sel_hi:[0,1,1] neg_lo:[0,0,1] neg_hi:[0,0,1]
	v_pk_add_f16 v13, v16, v13
	;; [unrolled: 2-line block ×7, first 2 shown]
	v_alignbit_b32 v16, v2, v2, 16
	v_pk_fma_f16 v2, v20, s7, v69 op_sel_hi:[0,1,1] neg_lo:[0,0,1] neg_hi:[0,0,1]
	v_alignbit_b32 v17, v13, v13, 16
	v_pk_add_f16 v2, v2, v12 op_sel_hi:[1,0]
	v_pk_fma_f16 v13, v21, s11, v70 op_sel_hi:[0,1,1] neg_lo:[0,0,1] neg_hi:[0,0,1]
	v_pk_add_f16 v2, v13, v2
	v_pk_fma_f16 v13, v22, s17, v71 op_sel_hi:[0,1,1] neg_lo:[0,0,1] neg_hi:[0,0,1]
	v_pk_add_f16 v2, v13, v2
	;; [unrolled: 2-line block ×7, first 2 shown]
	v_alignbit_b32 v18, v2, v2, 16
	v_pk_fma_f16 v2, v20, s4, v23 op_sel_hi:[0,1,1] neg_lo:[0,0,1] neg_hi:[0,0,1]
	v_pk_fma_f16 v13, v21, s5, v51 op_sel_hi:[0,1,1] neg_lo:[0,0,1] neg_hi:[0,0,1]
	v_pk_add_f16 v2, v2, v12 op_sel_hi:[1,0]
	v_pk_add_f16 v2, v13, v2
	v_pk_fma_f16 v13, v22, s6, v56 op_sel_hi:[0,1,1] neg_lo:[0,0,1] neg_hi:[0,0,1]
	v_pk_add_f16 v2, v13, v2
	v_pk_fma_f16 v13, v57, s10, v59 op_sel_hi:[0,1,1] neg_lo:[0,0,1] neg_hi:[0,0,1]
	;; [unrolled: 2-line block ×6, first 2 shown]
	v_pk_add_f16 v51, v13, v2
	v_alignbit_b32 v19, v51, v51, 16
	ds_write_b128 v73, v[16:19] offset:18
	v_lshl_add_u32 v19, v0, 1, v91
	v_lshlrev_b32_e32 v2, 5, v0
	s_waitcnt lgkmcnt(0)
	s_barrier
	v_sub_u32_e32 v2, v73, v2
	v_lshl_add_u32 v13, v5, 1, v91
	v_lshl_add_u32 v16, v6, 1, v91
	;; [unrolled: 1-line block ×7, first 2 shown]
	ds_read_u16 v65, v19
	ds_read_u16 v62, v2 offset:1156
	ds_read_u16 v61, v2 offset:1292
	;; [unrolled: 1-line block ×7, first 2 shown]
	ds_read_u16 v66, v17
	ds_read_u16 v67, v18
	;; [unrolled: 1-line block ×7, first 2 shown]
	ds_read_u16 v63, v2 offset:2108
	v_cmp_gt_u32_e64 s[0:1], 34, v0
	v_lshlrev_b32_e32 v23, 1, v90
	v_lshlrev_b32_e32 v53, 1, v11
                                        ; implicit-def: $vgpr64
	s_and_saveexec_b64 s[2:3], s[0:1]
	s_cbranch_execz .LBB0_14
; %bb.13:
	v_add3_u32 v51, 0, v53, v23
	ds_read_u16 v51, v51
	ds_read_u16 v64, v2 offset:2244
.LBB0_14:
	s_or_b64 exec, exec, s[2:3]
	v_sub_f16_e32 v14, v14, v49
	v_add_f16_sdwa v74, v35, v12 dst_sel:DWORD dst_unused:UNUSED_PAD src0_sel:DWORD src1_sel:WORD_1
	v_add_f16_e32 v35, v35, v55
	v_sub_f16_e32 v15, v15, v43
	v_sub_f16_e32 v37, v24, v37
	v_pk_mul_f16 v24, v14, s28 op_sel_hi:[0,1]
	v_add_f16_e32 v74, v36, v74
	v_add_f16_e32 v36, v36, v54
	v_sub_f16_e32 v34, v25, v34
	v_sub_f16_e32 v33, v26, v33
	v_pk_fma_f16 v25, v35, s4, v24 op_sel_hi:[0,1,1] neg_lo:[0,0,1] neg_hi:[0,0,1]
	v_pk_mul_f16 v26, v15, s33 op_sel_hi:[0,1]
	v_sub_f16_e32 v32, v27, v32
	v_pk_add_f16 v25, v25, v12 op_sel:[0,1]
	v_pk_fma_f16 v27, v36, s5, v26 op_sel_hi:[0,1,1] neg_lo:[0,0,1] neg_hi:[0,0,1]
	v_add_f16_e32 v74, v38, v74
	v_add_f16_e32 v38, v38, v52
	v_pk_add_f16 v25, v27, v25
	v_pk_mul_f16 v27, v37, s37 op_sel_hi:[0,1]
	v_add_f16_e32 v74, v39, v74
	v_sub_f16_e32 v29, v29, v30
	v_pk_fma_f16 v30, v38, s6, v27 op_sel_hi:[0,1,1] neg_lo:[0,0,1] neg_hi:[0,0,1]
	v_add_f16_e32 v74, v40, v74
	v_add_f16_e32 v39, v39, v50
	v_pk_add_f16 v25, v30, v25
	v_pk_mul_f16 v30, v34, s40 op_sel_hi:[0,1]
	v_add_f16_e32 v74, v41, v74
	v_pk_fma_f16 v43, v39, s10, v30 op_sel_hi:[0,1,1] neg_lo:[0,0,1] neg_hi:[0,0,1]
	v_add_f16_e32 v74, v42, v74
	v_add_f16_e32 v40, v40, v48
	v_pk_add_f16 v25, v43, v25
	v_pk_mul_f16 v43, v33, s45 op_sel_hi:[0,1]
	v_pk_fma_f16 v24, v35, s4, v24 op_sel_hi:[0,1,1]
	v_add_f16_e32 v74, v44, v74
	v_sub_f16_e32 v28, v28, v31
	v_add_f16_e32 v31, v44, v45
	v_pk_fma_f16 v44, v40, s16, v43 op_sel_hi:[0,1,1] neg_lo:[0,0,1] neg_hi:[0,0,1]
	v_pk_add_f16 v24, v24, v12 op_sel:[0,1]
	v_pk_fma_f16 v26, v36, s5, v26 op_sel_hi:[0,1,1]
	v_add_f16_e32 v41, v41, v47
	v_pk_add_f16 v25, v44, v25
	v_pk_mul_f16 v44, v32, s50 op_sel_hi:[0,1]
	v_pk_add_f16 v24, v26, v24
	v_pk_fma_f16 v26, v38, s6, v27 op_sel_hi:[0,1,1]
	v_add_f16_e32 v74, v45, v74
	v_pk_fma_f16 v45, v41, s23, v44 op_sel_hi:[0,1,1] neg_lo:[0,0,1] neg_hi:[0,0,1]
	v_pk_add_f16 v24, v26, v24
	v_pk_fma_f16 v26, v39, s10, v30 op_sel_hi:[0,1,1]
	v_add_f16_e32 v42, v42, v46
	v_pk_add_f16 v25, v45, v25
	v_pk_mul_f16 v45, v28, s57 op_sel_hi:[0,1]
	v_pk_add_f16 v24, v26, v24
	v_pk_fma_f16 v26, v40, s16, v43 op_sel_hi:[0,1,1]
	v_add_f16_e32 v74, v46, v74
	v_pk_fma_f16 v46, v42, s29, v45 op_sel_hi:[0,1,1] neg_lo:[0,0,1] neg_hi:[0,0,1]
	v_pk_add_f16 v24, v26, v24
	v_pk_fma_f16 v26, v41, s23, v44 op_sel_hi:[0,1,1]
	v_pk_add_f16 v25, v46, v25
	v_pk_mul_f16 v46, v29, s74 op_sel_hi:[0,1]
	v_pk_add_f16 v24, v26, v24
	v_pk_fma_f16 v26, v42, s29, v45 op_sel_hi:[0,1,1]
	v_pk_add_f16 v24, v26, v24
	v_pk_fma_f16 v26, v31, s73, v46 op_sel_hi:[0,1,1]
	v_pk_mul_f16 v27, v14, s42 op_sel_hi:[0,1]
	v_pk_add_f16 v24, v26, v24
	v_pk_fma_f16 v26, v35, s7, v27 op_sel_hi:[0,1,1] neg_lo:[0,0,1] neg_hi:[0,0,1]
	v_pk_mul_f16 v30, v15, s46 op_sel_hi:[0,1]
	v_pk_add_f16 v26, v26, v12 op_sel:[0,1]
	v_pk_fma_f16 v43, v36, s11, v30 op_sel_hi:[0,1,1] neg_lo:[0,0,1] neg_hi:[0,0,1]
	v_pk_add_f16 v26, v43, v26
	v_pk_mul_f16 v43, v37, s49 op_sel_hi:[0,1]
	v_pk_fma_f16 v44, v38, s17, v43 op_sel_hi:[0,1,1] neg_lo:[0,0,1] neg_hi:[0,0,1]
	v_pk_add_f16 v26, v44, v26
	v_pk_mul_f16 v44, v34, s51 op_sel_hi:[0,1]
	;; [unrolled: 3-line block ×3, first 2 shown]
	v_pk_fma_f16 v27, v35, s7, v27 op_sel_hi:[0,1,1]
	v_add_f16_e32 v74, v47, v74
	v_pk_fma_f16 v47, v31, s73, v46 op_sel_hi:[0,1,1] neg_lo:[0,0,1] neg_hi:[0,0,1]
	v_pk_fma_f16 v46, v40, s24, v45 op_sel_hi:[0,1,1] neg_lo:[0,0,1] neg_hi:[0,0,1]
	v_pk_add_f16 v27, v27, v12 op_sel:[0,1]
	v_pk_fma_f16 v30, v36, s11, v30 op_sel_hi:[0,1,1]
	v_pk_add_f16 v26, v46, v26
	v_pk_mul_f16 v46, v32, s58 op_sel_hi:[0,1]
	v_pk_add_f16 v27, v30, v27
	v_pk_fma_f16 v30, v38, s17, v43 op_sel_hi:[0,1,1]
	v_pk_add_f16 v25, v47, v25
	v_pk_fma_f16 v47, v41, s27, v46 op_sel_hi:[0,1,1] neg_lo:[0,0,1] neg_hi:[0,0,1]
	v_pk_add_f16 v27, v30, v27
	v_pk_fma_f16 v30, v39, s20, v44 op_sel_hi:[0,1,1]
	v_pk_add_f16 v26, v47, v26
	v_pk_mul_f16 v47, v28, s61 op_sel_hi:[0,1]
	v_pk_add_f16 v27, v30, v27
	v_pk_fma_f16 v30, v40, s24, v45 op_sel_hi:[0,1,1]
	v_add_f16_e32 v74, v48, v74
	v_pk_fma_f16 v48, v42, s34, v47 op_sel_hi:[0,1,1] neg_lo:[0,0,1] neg_hi:[0,0,1]
	v_pk_add_f16 v27, v30, v27
	v_pk_fma_f16 v30, v41, s27, v46 op_sel_hi:[0,1,1]
	v_pk_add_f16 v26, v48, v26
	v_pk_mul_f16 v48, v29, s66 op_sel_hi:[0,1]
	v_pk_add_f16 v27, v30, v27
	v_pk_fma_f16 v30, v42, s34, v47 op_sel_hi:[0,1,1]
	v_pk_add_f16 v27, v30, v27
	v_pk_fma_f16 v30, v31, s41, v48 op_sel_hi:[0,1,1]
	v_pk_mul_f16 v43, v14, s52 op_sel_hi:[0,1]
	v_pk_add_f16 v30, v30, v27
	v_pk_fma_f16 v27, v35, s18, v43 op_sel_hi:[0,1,1] neg_lo:[0,0,1] neg_hi:[0,0,1]
	v_pk_mul_f16 v44, v15, s55 op_sel_hi:[0,1]
	v_pk_add_f16 v27, v27, v12 op_sel:[0,1]
	v_pk_fma_f16 v45, v36, s21, v44 op_sel_hi:[0,1,1] neg_lo:[0,0,1] neg_hi:[0,0,1]
	v_pk_add_f16 v27, v45, v27
	v_pk_mul_f16 v45, v37, s59 op_sel_hi:[0,1]
	v_pk_fma_f16 v46, v38, s25, v45 op_sel_hi:[0,1,1] neg_lo:[0,0,1] neg_hi:[0,0,1]
	v_pk_add_f16 v27, v46, v27
	v_pk_mul_f16 v46, v34, s62 op_sel_hi:[0,1]
	;; [unrolled: 3-line block ×3, first 2 shown]
	v_pk_fma_f16 v43, v35, s18, v43 op_sel_hi:[0,1,1]
	v_pk_fma_f16 v49, v31, s41, v48 op_sel_hi:[0,1,1] neg_lo:[0,0,1] neg_hi:[0,0,1]
	v_pk_fma_f16 v48, v40, s35, v47 op_sel_hi:[0,1,1] neg_lo:[0,0,1] neg_hi:[0,0,1]
	v_pk_add_f16 v43, v43, v12 op_sel:[0,1]
	v_pk_fma_f16 v44, v36, s21, v44 op_sel_hi:[0,1,1]
	v_pk_add_f16 v27, v48, v27
	v_pk_mul_f16 v48, v32, s67 op_sel_hi:[0,1]
	v_pk_add_f16 v43, v44, v43
	v_pk_fma_f16 v44, v38, s25, v45 op_sel_hi:[0,1,1]
	v_pk_add_f16 v26, v49, v26
	v_pk_fma_f16 v49, v41, s38, v48 op_sel_hi:[0,1,1] neg_lo:[0,0,1] neg_hi:[0,0,1]
	v_pk_add_f16 v43, v44, v43
	v_pk_fma_f16 v44, v39, s30, v46 op_sel_hi:[0,1,1]
	v_pk_add_f16 v27, v49, v27
	v_pk_mul_f16 v49, v28, s69 op_sel_hi:[0,1]
	v_pk_add_f16 v43, v44, v43
	v_pk_fma_f16 v44, v40, s35, v47 op_sel_hi:[0,1,1]
	v_add_f16_e32 v74, v50, v74
	v_pk_fma_f16 v50, v42, s43, v49 op_sel_hi:[0,1,1] neg_lo:[0,0,1] neg_hi:[0,0,1]
	v_pk_add_f16 v43, v44, v43
	v_pk_fma_f16 v44, v41, s38, v48 op_sel_hi:[0,1,1]
	v_pk_add_f16 v27, v50, v27
	v_pk_mul_f16 v50, v29, s71 op_sel_hi:[0,1]
	v_pk_add_f16 v43, v44, v43
	v_pk_fma_f16 v44, v42, s43, v49 op_sel_hi:[0,1,1]
	v_pk_add_f16 v43, v44, v43
	v_pk_fma_f16 v44, v31, s47, v50 op_sel_hi:[0,1,1]
	v_pk_mul_f16 v14, v14, s53 op_sel_hi:[0,1]
	v_pk_add_f16 v43, v44, v43
	v_pk_fma_f16 v44, v35, s19, v14 op_sel_hi:[0,1,1] neg_lo:[0,0,1] neg_hi:[0,0,1]
	v_pk_mul_f16 v15, v15, s56 op_sel_hi:[0,1]
	v_pk_add_f16 v44, v44, v12 op_sel:[0,1]
	v_pk_fma_f16 v45, v36, s22, v15 op_sel_hi:[0,1,1] neg_lo:[0,0,1] neg_hi:[0,0,1]
	v_pk_mul_f16 v37, v37, s60 op_sel_hi:[0,1]
	v_pk_fma_f16 v14, v35, s19, v14 op_sel_hi:[0,1,1]
	v_pk_add_f16 v44, v45, v44
	v_pk_fma_f16 v45, v38, s26, v37 op_sel_hi:[0,1,1] neg_lo:[0,0,1] neg_hi:[0,0,1]
	v_pk_mul_f16 v34, v34, s63 op_sel_hi:[0,1]
	v_pk_add_f16 v12, v14, v12 op_sel:[0,1]
	v_pk_fma_f16 v14, v36, s22, v15 op_sel_hi:[0,1,1]
	v_pk_add_f16 v44, v45, v44
	v_pk_fma_f16 v45, v39, s31, v34 op_sel_hi:[0,1,1] neg_lo:[0,0,1] neg_hi:[0,0,1]
	v_pk_mul_f16 v33, v33, s65 op_sel_hi:[0,1]
	v_pk_add_f16 v12, v14, v12
	v_pk_fma_f16 v14, v38, s26, v37 op_sel_hi:[0,1,1]
	v_pk_add_f16 v44, v45, v44
	v_pk_fma_f16 v45, v40, s36, v33 op_sel_hi:[0,1,1] neg_lo:[0,0,1] neg_hi:[0,0,1]
	v_pk_mul_f16 v32, v32, s68 op_sel_hi:[0,1]
	v_pk_add_f16 v12, v14, v12
	v_pk_fma_f16 v14, v39, s31, v34 op_sel_hi:[0,1,1]
	v_pk_add_f16 v44, v45, v44
	v_pk_fma_f16 v45, v41, s39, v32 op_sel_hi:[0,1,1] neg_lo:[0,0,1] neg_hi:[0,0,1]
	v_pk_add_f16 v12, v14, v12
	v_pk_fma_f16 v14, v40, s36, v33 op_sel_hi:[0,1,1]
	v_pk_add_f16 v44, v45, v44
	v_pk_mul_f16 v45, v28, s70 op_sel_hi:[0,1]
	v_pk_add_f16 v12, v14, v12
	v_pk_fma_f16 v14, v41, s39, v32 op_sel_hi:[0,1,1]
	v_add_f16_e32 v74, v52, v74
	v_pk_fma_f16 v28, v42, s44, v45 op_sel_hi:[0,1,1] neg_lo:[0,0,1] neg_hi:[0,0,1]
	v_pk_mul_f16 v29, v29, s72 op_sel_hi:[0,1]
	v_pk_add_f16 v12, v14, v12
	v_pk_fma_f16 v14, v42, s44, v45 op_sel_hi:[0,1,1]
	v_add_f16_e32 v74, v54, v74
	v_pk_fma_f16 v52, v31, s47, v50 op_sel_hi:[0,1,1] neg_lo:[0,0,1] neg_hi:[0,0,1]
	v_pk_add_f16 v28, v28, v44
	v_pk_fma_f16 v44, v31, s48, v29 op_sel_hi:[0,1,1] neg_lo:[0,0,1] neg_hi:[0,0,1]
	v_pk_add_f16 v12, v14, v12
	v_pk_fma_f16 v14, v31, s48, v29 op_sel_hi:[0,1,1]
	v_add_f16_e32 v74, v55, v74
	v_pk_add_f16 v27, v52, v27
	v_pk_add_f16 v28, v44, v28
	;; [unrolled: 1-line block ×3, first 2 shown]
	s_waitcnt lgkmcnt(0)
	s_barrier
	ds_write_b16 v73, v74
	ds_write_b128 v73, v[25:28] offset:2
	v_alignbit_b32 v25, v12, v12, 16
	v_alignbit_b32 v26, v43, v43, 16
	;; [unrolled: 1-line block ×4, first 2 shown]
	ds_write_b128 v73, v[25:28] offset:18
	s_waitcnt lgkmcnt(0)
	s_barrier
	ds_read_u16 v12, v19
	ds_read_u16 v31, v2 offset:1156
	ds_read_u16 v32, v2 offset:1292
	;; [unrolled: 1-line block ×7, first 2 shown]
	ds_read_u16 v29, v16
	ds_read_u16 v28, v17
	;; [unrolled: 1-line block ×7, first 2 shown]
	ds_read_u16 v38, v2 offset:2108
                                        ; implicit-def: $vgpr39
	s_and_saveexec_b64 s[2:3], s[0:1]
	s_cbranch_execz .LBB0_16
; %bb.15:
	v_add3_u32 v14, 0, v53, v23
	ds_read_u16 v24, v14
	ds_read_u16 v39, v2 offset:2244
.LBB0_16:
	s_or_b64 exec, exec, s[2:3]
	s_movk_i32 s2, 0xf1
	v_mul_lo_u16_sdwa v40, v5, s2 dst_sel:DWORD dst_unused:UNUSED_PAD src0_sel:BYTE_0 src1_sel:DWORD
	v_lshrrev_b16_e32 v52, 12, v40
	v_mul_lo_u16_e32 v40, 17, v52
	v_sub_u16_e32 v54, v5, v40
	v_mul_lo_u16_sdwa v40, v6, s2 dst_sel:DWORD dst_unused:UNUSED_PAD src0_sel:BYTE_0 src1_sel:DWORD
	v_lshrrev_b16_e32 v73, 12, v40
	v_mul_lo_u16_sdwa v14, v0, s2 dst_sel:DWORD dst_unused:UNUSED_PAD src0_sel:BYTE_0 src1_sel:DWORD
	v_mul_lo_u16_e32 v40, 17, v73
	s_mov_b32 s2, 0xf0f1
	v_sub_u16_e32 v74, v6, v40
	v_mul_u32_u24_sdwa v40, v7, s2 dst_sel:DWORD dst_unused:UNUSED_PAD src0_sel:WORD_0 src1_sel:DWORD
	v_lshrrev_b32_e32 v75, 20, v40
	v_mul_lo_u16_e32 v40, 17, v75
	v_sub_u16_e32 v76, v7, v40
	v_mul_u32_u24_sdwa v40, v8, s2 dst_sel:DWORD dst_unused:UNUSED_PAD src0_sel:WORD_0 src1_sel:DWORD
	v_lshrrev_b32_e32 v78, 20, v40
	v_mul_lo_u16_e32 v40, 17, v78
	;; [unrolled: 4-line block ×4, first 2 shown]
	v_lshrrev_b16_e32 v49, 12, v14
	v_sub_u16_e32 v85, v10, v40
	v_mul_u32_u24_sdwa v40, v1, s2 dst_sel:DWORD dst_unused:UNUSED_PAD src0_sel:WORD_0 src1_sel:DWORD
	v_mul_lo_u16_e32 v14, 17, v49
	v_lshrrev_b32_e32 v87, 20, v40
	v_sub_u16_e32 v50, v0, v14
	v_mov_b32_e32 v14, 2
	v_mul_lo_u16_e32 v40, 17, v87
	v_lshlrev_b32_sdwa v48, v14, v50 dst_sel:DWORD dst_unused:UNUSED_PAD src0_sel:DWORD src1_sel:BYTE_0
	v_lshlrev_b32_sdwa v55, v14, v54 dst_sel:DWORD dst_unused:UNUSED_PAD src0_sel:DWORD src1_sel:BYTE_0
	;; [unrolled: 1-line block ×3, first 2 shown]
	v_sub_u16_e32 v88, v1, v40
	v_lshlrev_b32_e32 v77, 2, v76
	v_lshlrev_b32_e32 v80, 2, v79
	;; [unrolled: 1-line block ×5, first 2 shown]
	global_load_dword v47, v48, s[8:9]
	global_load_dword v46, v55, s[8:9]
	;; [unrolled: 1-line block ×8, first 2 shown]
	v_mul_u32_u24_sdwa v14, v11, s2 dst_sel:DWORD dst_unused:UNUSED_PAD src0_sel:WORD_0 src1_sel:DWORD
	v_lshrrev_b32_e32 v77, 20, v14
	v_mul_lo_u16_e32 v14, 17, v77
	v_sub_u16_e32 v80, v11, v14
	v_lshlrev_b32_e32 v14, 2, v80
	global_load_dword v48, v14, s[8:9]
	s_movk_i32 s2, 0x44
	v_mad_u32_u24 v49, v49, s2, 0
	s_waitcnt vmcnt(0) lgkmcnt(0)
	s_barrier
	v_mul_f16_sdwa v14, v31, v47 dst_sel:DWORD dst_unused:UNUSED_PAD src0_sel:DWORD src1_sel:WORD_1
	v_fma_f16 v14, v62, v47, v14
	v_mul_f16_sdwa v55, v32, v46 dst_sel:DWORD dst_unused:UNUSED_PAD src0_sel:DWORD src1_sel:WORD_1
	v_sub_f16_e32 v94, v65, v14
	v_fma_f16 v55, v61, v46, v55
	v_mul_f16_sdwa v83, v33, v45 dst_sel:DWORD dst_unused:UNUSED_PAD src0_sel:DWORD src1_sel:WORD_1
	v_mul_f16_sdwa v86, v34, v44 dst_sel:DWORD dst_unused:UNUSED_PAD src0_sel:DWORD src1_sel:WORD_1
	v_sub_f16_e32 v55, v72, v55
	v_mul_f16_sdwa v89, v35, v43 dst_sel:DWORD dst_unused:UNUSED_PAD src0_sel:DWORD src1_sel:WORD_1
	v_fma_f16 v83, v60, v45, v83
	v_fma_f16 v86, v59, v44, v86
	v_fma_f16 v65, v65, 2.0, -v94
	v_fma_f16 v72, v72, 2.0, -v55
	v_mul_f16_sdwa v93, v39, v48 dst_sel:DWORD dst_unused:UNUSED_PAD src0_sel:DWORD src1_sel:WORD_1
	v_fma_f16 v93, v64, v48, v93
	v_sub_f16_e32 v14, v51, v93
	v_mov_b32_e32 v93, 1
	v_lshlrev_b32_sdwa v50, v93, v50 dst_sel:DWORD dst_unused:UNUSED_PAD src0_sel:DWORD src1_sel:BYTE_0
	v_add3_u32 v49, v49, v50, v23
	v_mad_u32_u24 v50, v52, s2, 0
	v_lshlrev_b32_sdwa v52, v93, v54 dst_sel:DWORD dst_unused:UNUSED_PAD src0_sel:DWORD src1_sel:BYTE_0
	v_add3_u32 v50, v50, v52, v23
	v_mad_u32_u24 v52, v73, s2, 0
	v_lshlrev_b32_sdwa v54, v93, v74 dst_sel:DWORD dst_unused:UNUSED_PAD src0_sel:DWORD src1_sel:BYTE_0
	v_mul_f16_sdwa v90, v36, v42 dst_sel:DWORD dst_unused:UNUSED_PAD src0_sel:DWORD src1_sel:WORD_1
	v_fma_f16 v89, v58, v43, v89
	v_sub_f16_e32 v83, v71, v83
	v_sub_f16_e32 v86, v66, v86
	ds_write_b16 v49, v65
	ds_write_b16 v49, v94 offset:34
	ds_write_b16 v50, v72
	ds_write_b16 v50, v55 offset:34
	v_add3_u32 v52, v52, v54, v23
	v_mad_u32_u24 v54, v75, s2, 0
	v_lshlrev_b32_e32 v55, 1, v76
	v_mul_f16_sdwa v91, v37, v41 dst_sel:DWORD dst_unused:UNUSED_PAD src0_sel:DWORD src1_sel:WORD_1
	v_fma_f16 v90, v57, v42, v90
	v_sub_f16_e32 v89, v67, v89
	v_fma_f16 v71, v71, 2.0, -v83
	v_fma_f16 v66, v66, 2.0, -v86
	v_add3_u32 v54, v54, v55, v23
	v_mad_u32_u24 v55, v78, s2, 0
	v_lshlrev_b32_e32 v65, 1, v79
	v_mul_f16_sdwa v92, v38, v40 dst_sel:DWORD dst_unused:UNUSED_PAD src0_sel:DWORD src1_sel:WORD_1
	v_fma_f16 v91, v56, v41, v91
	v_sub_f16_e32 v90, v68, v90
	v_fma_f16 v67, v67, 2.0, -v89
	ds_write_b16 v52, v71
	ds_write_b16 v52, v83 offset:34
	ds_write_b16 v54, v66
	ds_write_b16 v54, v86 offset:34
	v_add3_u32 v55, v55, v65, v23
	v_mad_u32_u24 v65, v81, s2, 0
	v_lshlrev_b32_e32 v66, 1, v82
	v_fma_f16 v92, v63, v40, v92
	v_sub_f16_e32 v91, v69, v91
	v_fma_f16 v68, v68, 2.0, -v90
	ds_write_b16 v55, v67
	ds_write_b16 v55, v89 offset:34
	v_add3_u32 v65, v65, v66, v23
	v_mad_u32_u24 v66, v84, s2, 0
	v_lshlrev_b32_e32 v67, 1, v85
	v_sub_f16_e32 v92, v70, v92
	v_fma_f16 v69, v69, 2.0, -v91
	ds_write_b16 v65, v68
	ds_write_b16 v65, v90 offset:34
	v_add3_u32 v68, v66, v67, v23
	v_mad_u32_u24 v66, v87, s2, 0
	v_lshlrev_b32_e32 v67, 1, v88
	v_fma_f16 v70, v70, 2.0, -v92
	ds_write_b16 v68, v69
	ds_write_b16 v68, v91 offset:34
	v_add3_u32 v69, v66, v67, v23
	v_mul_lo_u16_e32 v66, 34, v77
	v_lshl_add_u32 v67, v80, 1, 0
	ds_write_b16 v69, v70
	ds_write_b16 v69, v92 offset:34
	s_and_saveexec_b64 s[2:3], s[0:1]
	s_cbranch_execz .LBB0_18
; %bb.17:
	v_lshlrev_b32_e32 v70, 1, v66
	v_fma_f16 v51, v51, 2.0, -v14
	v_add3_u32 v70, v67, v70, v23
	ds_write_b16 v70, v51
	ds_write_b16 v70, v14 offset:34
.LBB0_18:
	s_or_b64 exec, exec, s[2:3]
	v_mul_f16_sdwa v51, v62, v47 dst_sel:DWORD dst_unused:UNUSED_PAD src0_sel:DWORD src1_sel:WORD_1
	v_fma_f16 v31, v31, v47, -v51
	v_mul_f16_sdwa v47, v61, v46 dst_sel:DWORD dst_unused:UNUSED_PAD src0_sel:DWORD src1_sel:WORD_1
	v_fma_f16 v32, v32, v46, -v47
	;; [unrolled: 2-line block ×7, first 2 shown]
	v_mul_f16_sdwa v41, v63, v40 dst_sel:DWORD dst_unused:UNUSED_PAD src0_sel:DWORD src1_sel:WORD_1
	v_sub_f16_e32 v37, v25, v37
	v_fma_f16 v38, v38, v40, -v41
	v_mul_f16_sdwa v40, v64, v48 dst_sel:DWORD dst_unused:UNUSED_PAD src0_sel:DWORD src1_sel:WORD_1
	v_sub_f16_e32 v43, v30, v32
	v_sub_f16_e32 v51, v29, v33
	;; [unrolled: 1-line block ×5, first 2 shown]
	v_fma_f16 v63, v25, 2.0, -v37
	v_add3_u32 v25, 0, v53, v23
	v_fma_f16 v39, v39, v48, -v40
	v_sub_f16_e32 v40, v12, v31
	v_fma_f16 v48, v30, 2.0, -v43
	v_fma_f16 v56, v29, 2.0, -v51
	;; [unrolled: 1-line block ×5, first 2 shown]
	s_waitcnt lgkmcnt(0)
	s_barrier
	ds_read_u16 v34, v16
	ds_read_u16 v33, v17
	;; [unrolled: 1-line block ×8, first 2 shown]
	ds_read_u16 v28, v2 offset:1224
	ds_read_u16 v32, v2 offset:1360
	;; [unrolled: 1-line block ×7, first 2 shown]
	ds_read_u16 v35, v13
	ds_read_u16 v44, v2 offset:2176
	v_sub_f16_e32 v38, v15, v38
	v_fma_f16 v12, v12, 2.0, -v40
	v_fma_f16 v64, v15, 2.0, -v38
	v_sub_f16_e32 v15, v24, v39
	s_waitcnt lgkmcnt(0)
	s_barrier
	ds_write_b16 v49, v12
	ds_write_b16 v49, v40 offset:34
	ds_write_b16 v50, v48
	ds_write_b16 v50, v43 offset:34
	;; [unrolled: 2-line block ×8, first 2 shown]
	s_and_saveexec_b64 s[2:3], s[0:1]
	s_cbranch_execz .LBB0_20
; %bb.19:
	v_fma_f16 v12, v24, 2.0, -v15
	v_lshlrev_b32_e32 v24, 1, v66
	v_add3_u32 v24, v67, v24, v23
	ds_write_b16 v24, v12
	ds_write_b16 v24, v15 offset:34
.LBB0_20:
	s_or_b64 exec, exec, s[2:3]
	v_subrev_u32_e32 v12, 34, v0
	v_cndmask_b32_e64 v38, v12, v0, s[0:1]
	v_lshlrev_b32_e32 v39, 4, v38
	v_mov_b32_e32 v40, 0
	v_lshlrev_b64 v[39:40], 2, v[39:40]
	v_mov_b32_e32 v24, s9
	v_add_co_u32_e64 v39, s[2:3], s8, v39
	v_addc_co_u32_e64 v40, s[2:3], v24, v40, s[2:3]
	s_waitcnt lgkmcnt(0)
	s_barrier
	global_load_dwordx4 v[48:51], v[39:40], off offset:68
	global_load_dwordx4 v[52:55], v[39:40], off offset:84
	;; [unrolled: 1-line block ×4, first 2 shown]
	ds_read_u16 v24, v13
	ds_read_u16 v37, v16
	;; [unrolled: 1-line block ×9, first 2 shown]
	ds_read_u16 v68, v2 offset:1224
	ds_read_u16 v69, v2 offset:1360
	;; [unrolled: 1-line block ×8, first 2 shown]
	s_movk_i32 s23, 0x3b76
	s_movk_i32 s22, 0x39e9
	;; [unrolled: 1-line block ×4, first 2 shown]
	s_mov_b32 s24, 0xb461
	s_mov_b32 s25, 0xb8d2
	;; [unrolled: 1-line block ×4, first 2 shown]
	v_lshlrev_b32_e32 v38, 1, v38
	s_waitcnt vmcnt(0) lgkmcnt(0)
	s_barrier
	s_mov_b32 s7, 0xb5c8
	s_mov_b32 s6, 0xb964
	s_mov_b32 s5, 0xbb29
	s_mov_b32 s4, 0xbbf7
	s_mov_b32 s10, 0xbbb2
	s_mov_b32 s11, 0xba62
	s_mov_b32 s16, 0xb836
	s_mov_b32 s17, 0xb1e1
	s_movk_i32 s20, 0x3836
	s_movk_i32 s18, 0x3bb2
	;; [unrolled: 1-line block ×4, first 2 shown]
	v_mul_f16_sdwa v63, v35, v48 dst_sel:DWORD dst_unused:UNUSED_PAD src0_sel:DWORD src1_sel:WORD_1
	v_mul_f16_sdwa v60, v24, v48 dst_sel:DWORD dst_unused:UNUSED_PAD src0_sel:DWORD src1_sel:WORD_1
	;; [unrolled: 1-line block ×7, first 2 shown]
	v_fma_f16 v71, v24, v48, -v63
	v_mul_f16_sdwa v24, v46, v73 dst_sel:DWORD dst_unused:UNUSED_PAD src0_sel:DWORD src1_sel:WORD_1
	v_mul_f16_sdwa v66, v37, v49 dst_sel:DWORD dst_unused:UNUSED_PAD src0_sel:DWORD src1_sel:WORD_1
	;; [unrolled: 1-line block ×7, first 2 shown]
	v_fma_f16 v63, v39, v50, -v83
	v_fma_f16 v39, v30, v52, v86
	v_fma_f16 v30, v26, v54, v90
	;; [unrolled: 1-line block ×3, first 2 shown]
	v_fma_f16 v27, v65, v55, -v93
	v_fma_f16 v65, v79, v73, -v24
	v_mul_f16_sdwa v24, v80, v74 dst_sel:DWORD dst_unused:UNUSED_PAD src0_sel:DWORD src1_sel:WORD_1
	v_mul_f16_sdwa v67, v34, v49 dst_sel:DWORD dst_unused:UNUSED_PAD src0_sel:DWORD src1_sel:WORD_1
	;; [unrolled: 1-line block ×5, first 2 shown]
	v_fma_f16 v66, v34, v49, v66
	v_fma_f16 v34, v29, v53, v88
	v_fma_f16 v29, v68, v56, -v95
	v_fma_f16 v68, v45, v74, v24
	v_mul_f16_sdwa v24, v45, v74 dst_sel:DWORD dst_unused:UNUSED_PAD src0_sel:DWORD src1_sel:WORD_1
	v_mul_f16_sdwa v96, v69, v57 dst_sel:DWORD dst_unused:UNUSED_PAD src0_sel:DWORD src1_sel:WORD_1
	;; [unrolled: 1-line block ×4, first 2 shown]
	v_fma_f16 v70, v35, v48, v60
	v_fma_f16 v60, v33, v50, v82
	v_fma_f16 v33, v69, v57, -v97
	v_fma_f16 v69, v80, v74, -v24
	v_mul_f16_sdwa v24, v81, v75 dst_sel:DWORD dst_unused:UNUSED_PAD src0_sel:DWORD src1_sel:WORD_1
	v_mul_f16_sdwa v84, v40, v51 dst_sel:DWORD dst_unused:UNUSED_PAD src0_sel:DWORD src1_sel:WORD_1
	;; [unrolled: 1-line block ×3, first 2 shown]
	v_fma_f16 v32, v32, v57, v96
	v_fma_f16 v55, v47, v72, v102
	v_fma_f16 v57, v78, v72, -v103
	v_fma_f16 v72, v44, v75, v24
	v_mul_f16_sdwa v24, v44, v75 dst_sel:DWORD dst_unused:UNUSED_PAD src0_sel:DWORD src1_sel:WORD_1
	v_mul_f16_sdwa v85, v31, v51 dst_sel:DWORD dst_unused:UNUSED_PAD src0_sel:DWORD src1_sel:WORD_1
	v_fma_f16 v67, v37, v49, -v67
	v_fma_f16 v49, v31, v51, v84
	v_fma_f16 v31, v64, v54, -v91
	v_fma_f16 v64, v46, v73, v104
	v_fma_f16 v73, v81, v75, -v24
	v_add_f16_e32 v24, v41, v70
	v_add_f16_e32 v24, v24, v66
	;; [unrolled: 1-line block ×7, first 2 shown]
	v_fma_f16 v28, v28, v56, v94
	v_add_f16_e32 v24, v24, v26
	v_mul_f16_sdwa v98, v76, v58 dst_sel:DWORD dst_unused:UNUSED_PAD src0_sel:DWORD src1_sel:WORD_1
	v_add_f16_e32 v24, v24, v28
	v_mul_f16_sdwa v99, v36, v58 dst_sel:DWORD dst_unused:UNUSED_PAD src0_sel:DWORD src1_sel:WORD_1
	v_mul_f16_sdwa v100, v77, v59 dst_sel:DWORD dst_unused:UNUSED_PAD src0_sel:DWORD src1_sel:WORD_1
	v_fma_f16 v36, v36, v58, v98
	v_add_f16_e32 v24, v24, v32
	v_mul_f16_sdwa v101, v42, v59 dst_sel:DWORD dst_unused:UNUSED_PAD src0_sel:DWORD src1_sel:WORD_1
	v_fma_f16 v42, v42, v59, v100
	v_add_f16_e32 v24, v24, v36
	v_add_f16_e32 v24, v24, v42
	;; [unrolled: 1-line block ×5, first 2 shown]
	v_sub_f16_e32 v45, v71, v73
	v_fma_f16 v50, v40, v51, -v85
	v_fma_f16 v40, v43, v52, -v87
	;; [unrolled: 1-line block ×4, first 2 shown]
	v_add_f16_e32 v44, v24, v72
	v_add_f16_e32 v24, v70, v72
	v_mul_f16_e32 v46, 0xb5c8, v45
	v_mul_f16_e32 v48, 0xb964, v45
	v_mul_f16_e32 v52, 0xbb29, v45
	v_mul_f16_e32 v54, 0xbbf7, v45
	v_mul_f16_e32 v58, 0xbbb2, v45
	v_mul_f16_e32 v61, 0xba62, v45
	v_mul_f16_e32 v75, 0xb836, v45
	v_mul_f16_e32 v45, 0xb1e1, v45
	v_fma_f16 v43, v77, v59, -v101
	v_fma_f16 v47, v24, s23, v46
	v_fma_f16 v46, v24, s23, -v46
	v_fma_f16 v51, v24, s22, v48
	;; [unrolled: 2-line block ×8, first 2 shown]
	v_fma_f16 v24, v24, s27, -v45
	v_sub_f16_e32 v45, v67, v69
	v_add_f16_e32 v47, v41, v47
	v_add_f16_e32 v46, v41, v46
	;; [unrolled: 1-line block ×17, first 2 shown]
	v_mul_f16_e32 v78, 0xb964, v45
	v_fma_f16 v79, v41, s22, v78
	v_fma_f16 v78, v41, s22, -v78
	v_add_f16_e32 v46, v78, v46
	v_mul_f16_e32 v78, 0xbbf7, v45
	v_add_f16_e32 v47, v79, v47
	v_fma_f16 v79, v41, s2, v78
	v_fma_f16 v78, v41, s2, -v78
	v_add_f16_e32 v48, v78, v48
	v_mul_f16_e32 v78, 0xba62, v45
	v_add_f16_e32 v51, v79, v51
	v_fma_f16 v79, v41, s25, v78
	v_fma_f16 v78, v41, s25, -v78
	v_add_f16_e32 v52, v78, v52
	v_mul_f16_e32 v78, 0xb1e1, v45
	v_add_f16_e32 v53, v79, v53
	v_fma_f16 v79, v41, s27, v78
	v_fma_f16 v78, v41, s27, -v78
	v_add_f16_e32 v54, v78, v54
	v_mul_f16_e32 v78, 0x3836, v45
	v_add_f16_e32 v56, v79, v56
	v_fma_f16 v79, v41, s26, v78
	v_fma_f16 v78, v41, s26, -v78
	v_add_f16_e32 v58, v78, v58
	v_mul_f16_e32 v78, 0x3bb2, v45
	v_add_f16_e32 v59, v79, v59
	v_fma_f16 v79, v41, s24, v78
	v_fma_f16 v78, v41, s24, -v78
	v_add_f16_e32 v61, v78, v61
	v_mul_f16_e32 v78, 0x3b29, v45
	v_add_f16_e32 v74, v79, v74
	v_fma_f16 v79, v41, s3, v78
	v_fma_f16 v78, v41, s3, -v78
	v_mul_f16_e32 v45, 0x35c8, v45
	v_add_f16_e32 v75, v78, v75
	v_fma_f16 v78, v41, s23, v45
	v_fma_f16 v41, v41, s23, -v45
	v_sub_f16_e32 v45, v63, v65
	v_add_f16_e32 v77, v78, v77
	v_add_f16_e32 v24, v41, v24
	v_add_f16_e32 v41, v60, v64
	v_mul_f16_e32 v78, 0xbb29, v45
	v_add_f16_e32 v76, v79, v76
	v_fma_f16 v79, v41, s3, v78
	v_fma_f16 v78, v41, s3, -v78
	v_add_f16_e32 v46, v78, v46
	v_mul_f16_e32 v78, 0xba62, v45
	v_add_f16_e32 v47, v79, v47
	v_fma_f16 v79, v41, s25, v78
	v_fma_f16 v78, v41, s25, -v78
	v_add_f16_e32 v48, v78, v48
	v_mul_f16_e32 v78, 0x31e1, v45
	v_add_f16_e32 v51, v79, v51
	v_fma_f16 v79, v41, s27, v78
	v_fma_f16 v78, v41, s27, -v78
	v_add_f16_e32 v52, v78, v52
	v_mul_f16_e32 v78, 0x3bb2, v45
	v_add_f16_e32 v53, v79, v53
	v_fma_f16 v79, v41, s24, v78
	v_fma_f16 v78, v41, s24, -v78
	v_add_f16_e32 v54, v78, v54
	v_mul_f16_e32 v78, 0x3964, v45
	v_add_f16_e32 v56, v79, v56
	v_fma_f16 v79, v41, s22, v78
	v_fma_f16 v78, v41, s22, -v78
	v_add_f16_e32 v58, v78, v58
	v_mul_f16_e32 v78, 0xb5c8, v45
	v_add_f16_e32 v59, v79, v59
	v_fma_f16 v79, v41, s23, v78
	v_fma_f16 v78, v41, s23, -v78
	v_add_f16_e32 v61, v78, v61
	v_mul_f16_e32 v78, 0xbbf7, v45
	v_add_f16_e32 v74, v79, v74
	v_fma_f16 v79, v41, s2, v78
	v_fma_f16 v78, v41, s2, -v78
	v_mul_f16_e32 v45, 0xb836, v45
	v_add_f16_e32 v75, v78, v75
	v_fma_f16 v78, v41, s26, v45
	v_fma_f16 v41, v41, s26, -v45
	v_sub_f16_e32 v45, v50, v57
	v_add_f16_e32 v77, v78, v77
	v_add_f16_e32 v24, v41, v24
	v_add_f16_e32 v41, v49, v55
	v_mul_f16_e32 v78, 0xbbf7, v45
	v_add_f16_e32 v76, v79, v76
	;; [unrolled: 42-line block ×5, first 2 shown]
	v_fma_f16 v79, v41, s26, v78
	v_fma_f16 v78, v41, s26, -v78
	v_add_f16_e32 v46, v78, v46
	v_mul_f16_e32 v78, 0x3b29, v45
	v_add_f16_e32 v47, v79, v47
	v_fma_f16 v79, v41, s3, v78
	v_fma_f16 v78, v41, s3, -v78
	v_add_f16_e32 v48, v78, v48
	v_mul_f16_e32 v78, 0xbbf7, v45
	v_add_f16_e32 v51, v79, v51
	;; [unrolled: 5-line block ×6, first 2 shown]
	v_fma_f16 v79, v41, s22, v78
	v_fma_f16 v78, v41, s22, -v78
	v_mul_f16_e32 v45, 0xbbb2, v45
	v_add_f16_e32 v75, v78, v75
	v_fma_f16 v78, v41, s24, v45
	v_add_f16_e32 v77, v78, v77
	v_fma_f16 v41, v41, s24, -v45
	v_sub_f16_e32 v78, v27, v29
	v_add_f16_e32 v41, v41, v24
	v_add_f16_e32 v45, v26, v28
	v_mul_f16_e32 v24, 0xb1e1, v78
	v_add_f16_e32 v76, v79, v76
	v_fma_f16 v79, v45, s27, v24
	v_fma_f16 v24, v45, s27, -v24
	v_add_f16_e32 v24, v24, v46
	v_mul_f16_e32 v46, 0x35c8, v78
	v_add_f16_e32 v47, v79, v47
	v_fma_f16 v79, v45, s23, v46
	v_fma_f16 v46, v45, s23, -v46
	;; [unrolled: 5-line block ×6, first 2 shown]
	v_add_f16_e32 v58, v58, v61
	v_mul_f16_e32 v61, 0xbbb2, v78
	v_add_f16_e32 v79, v79, v74
	v_fma_f16 v74, v45, s24, v61
	v_add_f16_e32 v76, v74, v76
	v_fma_f16 v61, v45, s24, -v61
	v_mul_f16_e32 v74, 0x3bf7, v78
	v_add_f16_e32 v61, v61, v75
	v_fma_f16 v75, v45, s2, v74
	v_fma_f16 v45, v45, s2, -v74
	v_add_f16_e32 v41, v45, v41
	v_mov_b32_e32 v45, 0x484
	v_cmp_lt_u32_e64 s[2:3], 33, v0
	v_cndmask_b32_e64 v45, 0, v45, s[2:3]
	v_add_u32_e32 v45, 0, v45
	v_add3_u32 v74, v45, v38, v23
	v_add_f16_e32 v75, v75, v77
	ds_write_b16 v74, v44
	ds_write_b16 v74, v47 offset:68
	ds_write_b16 v74, v51 offset:136
	;; [unrolled: 1-line block ×16, first 2 shown]
	s_waitcnt lgkmcnt(0)
	s_barrier
	ds_read_u16 v23, v19
	ds_read_u16 v38, v2 offset:1156
	ds_read_u16 v41, v2 offset:1292
	;; [unrolled: 1-line block ×7, first 2 shown]
	ds_read_u16 v46, v16
	ds_read_u16 v48, v17
	;; [unrolled: 1-line block ×7, first 2 shown]
	ds_read_u16 v61, v2 offset:2108
	s_movk_i32 s25, 0x31e1
	s_movk_i32 s24, 0x3964
	;; [unrolled: 1-line block ×4, first 2 shown]
	s_and_saveexec_b64 s[2:3], s[0:1]
	s_cbranch_execz .LBB0_22
; %bb.21:
	ds_read_u16 v24, v25
	ds_read_u16 v14, v2 offset:2244
.LBB0_22:
	s_or_b64 exec, exec, s[2:3]
	v_add_f16_e32 v75, v62, v71
	v_add_f16_e32 v75, v75, v67
	v_add_f16_e32 v75, v75, v63
	v_add_f16_e32 v75, v75, v50
	v_add_f16_e32 v75, v75, v40
	v_add_f16_e32 v75, v75, v35
	v_add_f16_e32 v75, v75, v31
	v_add_f16_e32 v75, v75, v27
	v_add_f16_e32 v75, v75, v29
	v_add_f16_e32 v75, v75, v33
	v_add_f16_e32 v75, v75, v37
	v_add_f16_e32 v75, v75, v43
	v_add_f16_e32 v75, v75, v57
	v_add_f16_e32 v75, v75, v65
	v_add_f16_e32 v71, v71, v73
	v_add_f16_e32 v75, v75, v69
	v_sub_f16_e32 v70, v70, v72
	v_mul_f16_e32 v72, 0x3b76, v71
	v_mul_f16_e32 v76, 0x39e9, v71
	;; [unrolled: 1-line block ×8, first 2 shown]
	v_add_f16_e32 v67, v67, v69
	v_add_f16_e32 v75, v75, v73
	v_fma_f16 v73, v70, s21, v72
	v_fma_f16 v72, v70, s7, v72
	;; [unrolled: 1-line block ×16, first 2 shown]
	v_sub_f16_e32 v66, v66, v68
	v_mul_f16_e32 v68, 0x39e9, v67
	v_add_f16_e32 v73, v62, v73
	v_add_f16_e32 v72, v62, v72
	;; [unrolled: 1-line block ×16, first 2 shown]
	v_fma_f16 v69, v66, s24, v68
	v_fma_f16 v68, v66, s6, v68
	v_mul_f16_e32 v70, 0x2de8, v67
	v_add_f16_e32 v68, v68, v72
	v_fma_f16 v71, v66, s22, v70
	v_fma_f16 v70, v66, s4, v70
	v_mul_f16_e32 v72, 0xb8d2, v67
	v_add_f16_e32 v69, v69, v73
	v_add_f16_e32 v70, v70, v76
	v_fma_f16 v73, v66, s23, v72
	v_fma_f16 v72, v66, s11, v72
	v_mul_f16_e32 v76, 0xbbdd, v67
	v_add_f16_e32 v71, v71, v77
	v_add_f16_e32 v72, v72, v78
	v_fma_f16 v77, v66, s25, v76
	v_fma_f16 v76, v66, s17, v76
	v_mul_f16_e32 v78, 0xbacd, v67
	v_add_f16_e32 v73, v73, v79
	v_add_f16_e32 v76, v76, v80
	v_fma_f16 v79, v66, s16, v78
	v_fma_f16 v78, v66, s20, v78
	v_mul_f16_e32 v80, 0xb461, v67
	v_add_f16_e32 v77, v77, v81
	v_add_f16_e32 v78, v78, v82
	v_fma_f16 v81, v66, s10, v80
	v_fma_f16 v80, v66, s18, v80
	v_mul_f16_e32 v82, 0x3722, v67
	v_mul_f16_e32 v67, 0x3b76, v67
	v_add_f16_e32 v63, v63, v65
	v_add_f16_e32 v79, v79, v83
	;; [unrolled: 1-line block ×3, first 2 shown]
	v_fma_f16 v83, v66, s5, v82
	v_fma_f16 v82, v66, s19, v82
	;; [unrolled: 1-line block ×4, first 2 shown]
	v_sub_f16_e32 v60, v60, v64
	v_mul_f16_e32 v64, 0x3722, v63
	v_add_f16_e32 v62, v66, v62
	v_fma_f16 v65, v60, s19, v64
	v_fma_f16 v64, v60, s5, v64
	v_mul_f16_e32 v66, 0xb8d2, v63
	v_add_f16_e32 v64, v64, v68
	v_fma_f16 v67, v60, s23, v66
	v_fma_f16 v66, v60, s11, v66
	v_mul_f16_e32 v68, 0xbbdd, v63
	v_add_f16_e32 v65, v65, v69
	v_add_f16_e32 v66, v66, v70
	v_fma_f16 v69, v60, s17, v68
	v_fma_f16 v68, v60, s25, v68
	v_mul_f16_e32 v70, 0xb461, v63
	v_add_f16_e32 v67, v67, v71
	;; [unrolled: 5-line block ×4, first 2 shown]
	v_add_f16_e32 v72, v72, v78
	v_fma_f16 v77, v60, s21, v76
	v_fma_f16 v76, v60, s7, v76
	v_mul_f16_e32 v78, 0x2de8, v63
	v_mul_f16_e32 v63, 0xbacd, v63
	v_add_f16_e32 v50, v50, v57
	v_add_f16_e32 v73, v73, v79
	;; [unrolled: 1-line block ×3, first 2 shown]
	v_fma_f16 v79, v60, s22, v78
	v_fma_f16 v78, v60, s4, v78
	v_fma_f16 v80, v60, s20, v63
	v_fma_f16 v60, v60, s16, v63
	v_sub_f16_e32 v49, v49, v55
	v_mul_f16_e32 v55, 0x2de8, v50
	v_add_f16_e32 v60, v60, v62
	v_fma_f16 v57, v49, s22, v55
	v_fma_f16 v55, v49, s4, v55
	v_mul_f16_e32 v62, 0xbbdd, v50
	v_add_f16_e32 v55, v55, v64
	v_fma_f16 v63, v49, s25, v62
	v_fma_f16 v62, v49, s17, v62
	v_mul_f16_e32 v64, 0xb461, v50
	v_add_f16_e32 v57, v57, v65
	v_add_f16_e32 v62, v62, v66
	v_fma_f16 v65, v49, s10, v64
	v_fma_f16 v64, v49, s18, v64
	v_mul_f16_e32 v66, 0x3b76, v50
	v_add_f16_e32 v63, v63, v67
	v_add_f16_e32 v64, v64, v68
	v_fma_f16 v67, v49, s7, v66
	v_fma_f16 v66, v49, s21, v66
	v_mul_f16_e32 v68, 0x3722, v50
	v_add_f16_e32 v65, v65, v69
	v_add_f16_e32 v66, v66, v70
	v_fma_f16 v69, v49, s19, v68
	v_fma_f16 v68, v49, s5, v68
	v_mul_f16_e32 v70, 0xbacd, v50
	v_add_f16_e32 v40, v40, v43
	v_add_f16_e32 v67, v67, v71
	v_add_f16_e32 v68, v68, v72
	v_fma_f16 v71, v49, s20, v70
	v_fma_f16 v70, v49, s16, v70
	v_mul_f16_e32 v72, 0xb8d2, v50
	v_mul_f16_e32 v50, 0x39e9, v50
	v_sub_f16_e32 v39, v39, v42
	v_mul_f16_e32 v42, 0xb461, v40
	v_add_f16_e32 v69, v69, v73
	v_add_f16_e32 v70, v70, v76
	v_fma_f16 v73, v49, s11, v72
	v_fma_f16 v72, v49, s23, v72
	v_fma_f16 v76, v49, s6, v50
	v_fma_f16 v49, v49, s24, v50
	v_fma_f16 v43, v39, s18, v42
	v_fma_f16 v42, v39, s10, v42
	v_mul_f16_e32 v50, 0xbacd, v40
	v_add_f16_e32 v43, v43, v57
	v_add_f16_e32 v42, v42, v55
	v_fma_f16 v55, v39, s16, v50
	v_fma_f16 v50, v39, s20, v50
	v_mul_f16_e32 v57, 0x39e9, v40
	v_add_f16_e32 v49, v49, v60
	v_add_f16_e32 v50, v50, v62
	v_fma_f16 v60, v39, s6, v57
	v_fma_f16 v57, v39, s24, v57
	v_mul_f16_e32 v62, 0x3722, v40
	v_add_f16_e32 v55, v55, v63
	v_add_f16_e32 v57, v57, v64
	v_fma_f16 v63, v39, s19, v62
	v_fma_f16 v62, v39, s5, v62
	v_mul_f16_e32 v64, 0xbbdd, v40
	v_add_f16_e32 v60, v60, v65
	v_add_f16_e32 v62, v62, v66
	v_fma_f16 v65, v39, s25, v64
	v_fma_f16 v64, v39, s17, v64
	v_mul_f16_e32 v66, 0x2de8, v40
	v_add_f16_e32 v35, v35, v37
	v_add_f16_e32 v63, v63, v67
	v_add_f16_e32 v64, v64, v68
	v_fma_f16 v67, v39, s4, v66
	v_fma_f16 v66, v39, s22, v66
	v_mul_f16_e32 v68, 0x3b76, v40
	v_mul_f16_e32 v40, 0xb8d2, v40
	v_sub_f16_e32 v34, v34, v36
	v_mul_f16_e32 v36, 0xb8d2, v35
	v_add_f16_e32 v65, v65, v69
	v_add_f16_e32 v66, v66, v70
	v_fma_f16 v69, v39, s21, v68
	v_fma_f16 v68, v39, s7, v68
	v_fma_f16 v70, v39, s23, v40
	v_fma_f16 v39, v39, s11, v40
	v_fma_f16 v37, v34, s23, v36
	v_fma_f16 v36, v34, s11, v36
	v_mul_f16_e32 v40, 0xb461, v35
	v_add_f16_e32 v37, v37, v43
	;; [unrolled: 38-line block ×4, first 2 shown]
	v_add_f16_e32 v26, v26, v32
	v_fma_f16 v32, v28, s7, v31
	v_fma_f16 v31, v28, s21, v31
	v_mul_f16_e32 v33, 0xbacd, v27
	v_add_f16_e32 v81, v81, v85
	v_add_f16_e32 v83, v83, v87
	v_add_f16_e32 v82, v82, v86
	v_add_f16_e32 v84, v84, v88
	v_add_f16_e32 v30, v30, v34
	v_add_f16_e32 v31, v31, v35
	v_fma_f16 v34, v28, s20, v33
	v_fma_f16 v33, v28, s16, v33
	v_mul_f16_e32 v35, 0x39e9, v27
	v_add_f16_e32 v77, v77, v81
	v_add_f16_e32 v79, v79, v83
	v_add_f16_e32 v78, v78, v82
	v_add_f16_e32 v80, v80, v84
	v_add_f16_e32 v32, v32, v36
	v_add_f16_e32 v33, v33, v37
	v_fma_f16 v36, v28, s6, v35
	v_fma_f16 v35, v28, s24, v35
	v_mul_f16_e32 v37, 0xb8d2, v27
	v_add_f16_e32 v71, v71, v77
	v_add_f16_e32 v73, v73, v79
	v_add_f16_e32 v72, v72, v78
	v_add_f16_e32 v76, v76, v80
	v_add_f16_e32 v34, v34, v39
	v_add_f16_e32 v35, v35, v40
	v_fma_f16 v39, v28, s23, v37
	v_fma_f16 v37, v28, s11, v37
	v_mul_f16_e32 v40, 0x3722, v27
	v_add_f16_e32 v67, v67, v71
	v_add_f16_e32 v69, v69, v73
	v_add_f16_e32 v68, v68, v72
	v_add_f16_e32 v70, v70, v76
	v_add_f16_e32 v36, v36, v42
	v_add_f16_e32 v37, v37, v43
	v_fma_f16 v42, v28, s5, v40
	v_fma_f16 v40, v28, s19, v40
	v_mul_f16_e32 v43, 0xb461, v27
	v_mul_f16_e32 v27, 0x2de8, v27
	v_add_f16_e32 v63, v63, v67
	v_add_f16_e32 v65, v65, v69
	;; [unrolled: 1-line block ×5, first 2 shown]
	v_fma_f16 v50, v28, s4, v27
	v_fma_f16 v27, v28, s22, v27
	v_add_f16_e32 v55, v55, v63
	v_add_f16_e32 v60, v60, v65
	;; [unrolled: 1-line block ×5, first 2 shown]
	v_fma_f16 v49, v28, s18, v43
	v_fma_f16 v43, v28, s10, v43
	v_add_f16_e32 v27, v27, v30
	v_add_f16_e32 v42, v42, v55
	;; [unrolled: 1-line block ×5, first 2 shown]
	s_waitcnt lgkmcnt(0)
	s_barrier
	ds_write_b16 v74, v75
	ds_write_b16 v74, v29 offset:68
	ds_write_b16 v74, v32 offset:136
	ds_write_b16 v74, v34 offset:204
	ds_write_b16 v74, v36 offset:272
	ds_write_b16 v74, v39 offset:340
	ds_write_b16 v74, v42 offset:408
	ds_write_b16 v74, v49 offset:476
	ds_write_b16 v74, v50 offset:544
	ds_write_b16 v74, v27 offset:612
	ds_write_b16 v74, v43 offset:680
	ds_write_b16 v74, v40 offset:748
	ds_write_b16 v74, v37 offset:816
	ds_write_b16 v74, v35 offset:884
	ds_write_b16 v74, v33 offset:952
	ds_write_b16 v74, v31 offset:1020
	ds_write_b16 v74, v26 offset:1088
	s_waitcnt lgkmcnt(0)
	s_barrier
	ds_read_u16 v19, v19
	ds_read_u16 v27, v2 offset:1156
	ds_read_u16 v28, v2 offset:1292
	;; [unrolled: 1-line block ×7, first 2 shown]
	ds_read_u16 v16, v16
	ds_read_u16 v17, v17
	;; [unrolled: 1-line block ×7, first 2 shown]
	ds_read_u16 v34, v2 offset:2108
	s_and_saveexec_b64 s[2:3], s[0:1]
	s_cbranch_execz .LBB0_24
; %bb.23:
	ds_read_u16 v26, v25
	ds_read_u16 v15, v2 offset:2244
	v_mov_b32_e32 v12, v11
.LBB0_24:
	s_or_b64 exec, exec, s[2:3]
	s_and_saveexec_b64 s[2:3], vcc
	s_cbranch_execz .LBB0_27
; %bb.25:
	v_mov_b32_e32 v2, 0
	v_lshlrev_b64 v[35:36], 2, v[1:2]
	v_mov_b32_e32 v11, v2
	v_mov_b32_e32 v25, s9
	v_add_co_u32_e32 v35, vcc, s8, v35
	v_lshlrev_b64 v[10:11], 2, v[10:11]
	v_addc_co_u32_e32 v36, vcc, v25, v36, vcc
	v_add_co_u32_e32 v39, vcc, s8, v10
	v_mov_b32_e32 v10, v2
	v_lshlrev_b64 v[9:10], 2, v[9:10]
	v_addc_co_u32_e32 v40, vcc, v25, v11, vcc
	v_add_co_u32_e32 v9, vcc, s8, v9
	v_addc_co_u32_e32 v10, vcc, v25, v10, vcc
	global_load_dword v11, v[35:36], off offset:2244
	global_load_dword v37, v[39:40], off offset:2244
	;; [unrolled: 1-line block ×3, first 2 shown]
	v_mov_b32_e32 v9, v2
	v_lshlrev_b64 v[8:9], 2, v[8:9]
	v_mov_b32_e32 v1, v2
	v_add_co_u32_e32 v8, vcc, s8, v8
	v_addc_co_u32_e32 v9, vcc, v25, v9, vcc
	global_load_dword v9, v[8:9], off offset:2244
	v_mov_b32_e32 v8, v2
	v_lshlrev_b64 v[7:8], 2, v[7:8]
	v_add_co_u32_e32 v7, vcc, s8, v7
	v_addc_co_u32_e32 v8, vcc, v25, v8, vcc
	global_load_dword v8, v[7:8], off offset:2244
	v_mov_b32_e32 v7, v2
	v_lshlrev_b64 v[6:7], 2, v[6:7]
	;; [unrolled: 5-line block ×3, first 2 shown]
	v_add_co_u32_e32 v5, vcc, s8, v5
	v_addc_co_u32_e32 v6, vcc, v25, v6, vcc
	global_load_dword v10, v[5:6], off offset:2244
	v_lshlrev_b64 v[5:6], 2, v[0:1]
	v_add_co_u32_e32 v5, vcc, s8, v5
	v_addc_co_u32_e32 v6, vcc, v25, v6, vcc
	global_load_dword v25, v[5:6], off offset:2244
	s_waitcnt vmcnt(7)
	v_lshrrev_b32_e32 v1, 16, v11
	v_mul_f16_e32 v5, v61, v11
	s_waitcnt lgkmcnt(0)
	v_fma_f16 v5, v34, v1, v5
	v_mul_f16_e32 v1, v61, v1
	s_waitcnt vmcnt(6)
	v_lshrrev_b32_e32 v6, 16, v37
	v_mul_f16_e32 v35, v58, v37
	s_waitcnt vmcnt(5)
	v_lshrrev_b32_e32 v36, 16, v42
	v_mul_f16_e32 v39, v56, v42
	v_sub_f16_e32 v49, v59, v5
	v_fma_f16 v1, v34, v11, -v1
	s_waitcnt vmcnt(4)
	v_lshrrev_b32_e32 v40, 16, v9
	v_mul_f16_e32 v43, v53, v9
	v_fma_f16 v5, v33, v6, v35
	v_mul_f16_e32 v6, v58, v6
	v_fma_f16 v11, v32, v36, v39
	;; [unrolled: 2-line block ×3, first 2 shown]
	v_mul_f16_e32 v36, v53, v40
	v_sub_f16_e32 v40, v22, v1
	v_fma_f16 v1, v33, v37, -v6
	v_sub_f16_e32 v43, v54, v5
	v_fma_f16 v5, v32, v42, -v34
	;; [unrolled: 2-line block ×3, first 2 shown]
	v_sub_f16_e32 v37, v20, v5
	v_sub_f16_e32 v31, v18, v1
	s_waitcnt vmcnt(3)
	v_lshrrev_b32_e32 v1, 16, v8
	v_mul_f16_e32 v5, v47, v8
	v_fma_f16 v5, v30, v1, v5
	v_mul_f16_e32 v1, v47, v1
	v_fma_f16 v1, v30, v8, -v1
	v_sub_f16_e32 v36, v48, v5
	v_sub_f16_e32 v30, v17, v1
	s_waitcnt vmcnt(2)
	v_lshrrev_b32_e32 v1, 16, v7
	v_mul_f16_e32 v5, v44, v7
	v_fma_f16 v5, v29, v1, v5
	v_mul_f16_e32 v1, v44, v1
	v_fma_f16 v1, v29, v7, -v1
	;; [unrolled: 8-line block ×3, first 2 shown]
	v_sub_f16_e32 v44, v45, v5
	v_sub_f16_e32 v10, v13, v1
	s_waitcnt vmcnt(0)
	v_lshrrev_b32_e32 v1, 16, v25
	v_mul_f16_e32 v5, v38, v25
	v_fma_f16 v7, v27, v1, v5
	v_mad_u64_u32 v[5:6], s[2:3], s12, v0, 0
	v_mul_f16_e32 v9, v38, v1
	v_sub_f16_e32 v28, v23, v7
	v_mov_b32_e32 v1, v6
	v_mad_u64_u32 v[6:7], s[2:3], s13, v0, v[1:2]
	v_fma_f16 v1, v27, v25, -v9
	v_fma_f16 v8, v23, 2.0, -v28
	v_sub_f16_e32 v23, v19, v1
	v_fma_f16 v9, v19, 2.0, -v23
	v_mov_b32_e32 v7, s15
	v_add_co_u32_e32 v1, vcc, s14, v3
	v_add_u32_e32 v19, 0x242, v0
	v_addc_co_u32_e32 v3, vcc, v7, v4, vcc
	v_lshlrev_b64 v[4:5], 2, v[5:6]
	v_mad_u64_u32 v[6:7], s[2:3], s12, v19, 0
	v_add_co_u32_e32 v4, vcc, v1, v4
	v_addc_co_u32_e32 v5, vcc, v3, v5, vcc
	v_pack_b32_f16 v8, v8, v9
	global_store_dword v[4:5], v8, off
	v_mov_b32_e32 v4, v7
	v_mad_u64_u32 v[4:5], s[2:3], s13, v19, v[4:5]
	v_add_u32_e32 v19, 0x44, v0
	v_mad_u64_u32 v[8:9], s[2:3], s12, v19, 0
	v_mov_b32_e32 v7, v4
	v_lshlrev_b64 v[4:5], 2, v[6:7]
	v_mov_b32_e32 v6, v9
	v_mad_u64_u32 v[6:7], s[4:5], s13, v19, v[6:7]
	v_add_co_u32_e32 v4, vcc, v1, v4
	v_addc_co_u32_e32 v5, vcc, v3, v5, vcc
	v_pack_b32_f16 v7, v28, v23
	v_mov_b32_e32 v9, v6
	global_store_dword v[4:5], v7, off
	v_lshlrev_b64 v[4:5], 2, v[8:9]
	v_add_u32_e32 v8, 0x286, v0
	v_mad_u64_u32 v[6:7], s[4:5], s12, v8, 0
	v_add_u32_e32 v19, 0x88, v0
	v_fma_f16 v45, v45, 2.0, -v44
	v_mad_u64_u32 v[7:8], s[4:5], s13, v8, v[7:8]
	v_mad_u64_u32 v[8:9], s[4:5], s12, v19, 0
	v_fma_f16 v13, v13, 2.0, -v10
	v_add_co_u32_e32 v4, vcc, v1, v4
	v_addc_co_u32_e32 v5, vcc, v3, v5, vcc
	v_pack_b32_f16 v13, v45, v13
	global_store_dword v[4:5], v13, off
	v_lshlrev_b64 v[4:5], 2, v[6:7]
	v_mov_b32_e32 v6, v9
	v_mad_u64_u32 v[6:7], s[4:5], s13, v19, v[6:7]
	v_add_co_u32_e32 v4, vcc, v1, v4
	v_addc_co_u32_e32 v5, vcc, v3, v5, vcc
	v_pack_b32_f16 v7, v44, v10
	v_mov_b32_e32 v9, v6
	global_store_dword v[4:5], v7, off
	v_lshlrev_b64 v[4:5], 2, v[8:9]
	v_add_u32_e32 v8, 0x2ca, v0
	v_mad_u64_u32 v[6:7], s[4:5], s12, v8, 0
	v_add_u32_e32 v13, 0xcc, v0
	v_fma_f16 v46, v46, 2.0, -v47
	v_mad_u64_u32 v[7:8], s[4:5], s13, v8, v[7:8]
	v_mad_u64_u32 v[8:9], s[4:5], s12, v13, 0
	v_fma_f16 v16, v16, 2.0, -v29
	v_add_co_u32_e32 v4, vcc, v1, v4
	v_addc_co_u32_e32 v5, vcc, v3, v5, vcc
	v_pack_b32_f16 v10, v46, v16
	global_store_dword v[4:5], v10, off
	;; [unrolled: 20-line block ×3, first 2 shown]
	v_lshlrev_b64 v[4:5], 2, v[6:7]
	v_mov_b32_e32 v6, v9
	v_mad_u64_u32 v[6:7], s[4:5], s13, v13, v[6:7]
	v_add_co_u32_e32 v4, vcc, v1, v4
	v_addc_co_u32_e32 v5, vcc, v3, v5, vcc
	v_pack_b32_f16 v7, v36, v30
	v_mov_b32_e32 v9, v6
	global_store_dword v[4:5], v7, off
	v_lshlrev_b64 v[4:5], 2, v[8:9]
	v_add_u32_e32 v8, 0x352, v0
	v_mad_u64_u32 v[6:7], s[4:5], s12, v8, 0
	v_add_u32_e32 v13, 0x154, v0
	v_sub_f16_e32 v32, v51, v35
	v_mad_u64_u32 v[7:8], s[4:5], s13, v8, v[7:8]
	v_mad_u64_u32 v[8:9], s[4:5], s12, v13, 0
	v_fma_f16 v42, v51, 2.0, -v32
	v_fma_f16 v18, v18, 2.0, -v31
	v_add_co_u32_e32 v4, vcc, v1, v4
	v_addc_co_u32_e32 v5, vcc, v3, v5, vcc
	v_pack_b32_f16 v10, v42, v18
	global_store_dword v[4:5], v10, off
	v_lshlrev_b64 v[4:5], 2, v[6:7]
	v_mov_b32_e32 v6, v9
	v_mad_u64_u32 v[6:7], s[4:5], s13, v13, v[6:7]
	v_add_co_u32_e32 v4, vcc, v1, v4
	v_addc_co_u32_e32 v5, vcc, v3, v5, vcc
	v_pack_b32_f16 v7, v32, v31
	v_mov_b32_e32 v9, v6
	global_store_dword v[4:5], v7, off
	v_lshlrev_b64 v[4:5], 2, v[8:9]
	v_add_u32_e32 v8, 0x396, v0
	v_mad_u64_u32 v[6:7], s[4:5], s12, v8, 0
	v_add_u32_e32 v9, 0x198, v0
	s_mov_b32 s3, 0xe2c4a689
	v_mul_hi_u32 v13, v9, s3
	v_mad_u64_u32 v[7:8], s[4:5], s13, v8, v[7:8]
	s_movk_i32 s2, 0x242
	v_lshrrev_b32_e32 v8, 9, v13
	v_mad_u32_u24 v13, v8, s2, v9
	v_mad_u64_u32 v[8:9], s[4:5], s12, v13, 0
	v_sub_f16_e32 v11, v52, v11
	v_fma_f16 v35, v52, 2.0, -v11
	v_fma_f16 v20, v20, 2.0, -v37
	v_add_co_u32_e32 v4, vcc, v1, v4
	v_addc_co_u32_e32 v5, vcc, v3, v5, vcc
	v_pack_b32_f16 v10, v35, v20
	global_store_dword v[4:5], v10, off
	v_lshlrev_b64 v[4:5], 2, v[6:7]
	v_mov_b32_e32 v6, v9
	v_mad_u64_u32 v[6:7], s[4:5], s13, v13, v[6:7]
	v_add_co_u32_e32 v4, vcc, v1, v4
	v_addc_co_u32_e32 v5, vcc, v3, v5, vcc
	v_pack_b32_f16 v7, v11, v37
	v_mov_b32_e32 v9, v6
	global_store_dword v[4:5], v7, off
	v_lshlrev_b64 v[4:5], 2, v[8:9]
	v_add_u32_e32 v8, 0x242, v13
	v_mad_u64_u32 v[6:7], s[4:5], s12, v8, 0
	v_fma_f16 v33, v54, 2.0, -v43
	v_fma_f16 v21, v21, 2.0, -v34
	v_mad_u64_u32 v[7:8], s[4:5], s13, v8, v[7:8]
	v_add_u32_e32 v8, 0x1dc, v0
	v_mul_hi_u32 v10, v8, s3
	v_add_co_u32_e32 v4, vcc, v1, v4
	v_addc_co_u32_e32 v5, vcc, v3, v5, vcc
	v_pack_b32_f16 v9, v33, v21
	global_store_dword v[4:5], v9, off
	v_lshlrev_b64 v[4:5], 2, v[6:7]
	v_lshrrev_b32_e32 v6, 9, v10
	v_mad_u32_u24 v9, v6, s2, v8
	v_mad_u64_u32 v[6:7], s[2:3], s12, v9, 0
	v_add_u32_e32 v11, 0x242, v9
	v_add_co_u32_e32 v4, vcc, v1, v4
	v_mad_u64_u32 v[7:8], s[2:3], s13, v9, v[7:8]
	v_mad_u64_u32 v[8:9], s[2:3], s12, v11, 0
	v_addc_co_u32_e32 v5, vcc, v3, v5, vcc
	v_pack_b32_f16 v10, v43, v34
	global_store_dword v[4:5], v10, off
	v_lshlrev_b64 v[4:5], 2, v[6:7]
	v_mov_b32_e32 v6, v9
	v_mad_u64_u32 v[6:7], s[2:3], s13, v11, v[6:7]
	v_fma_f16 v39, v59, 2.0, -v49
	v_fma_f16 v22, v22, 2.0, -v40
	v_add_co_u32_e32 v4, vcc, v1, v4
	v_addc_co_u32_e32 v5, vcc, v3, v5, vcc
	v_pack_b32_f16 v7, v39, v22
	v_mov_b32_e32 v9, v6
	global_store_dword v[4:5], v7, off
	v_lshlrev_b64 v[4:5], 2, v[8:9]
	v_pack_b32_f16 v6, v49, v40
	v_add_co_u32_e32 v4, vcc, v1, v4
	v_addc_co_u32_e32 v5, vcc, v3, v5, vcc
	global_store_dword v[4:5], v6, off
	s_and_b64 exec, exec, s[0:1]
	s_cbranch_execz .LBB0_27
; %bb.26:
	v_mov_b32_e32 v13, v2
	v_lshlrev_b64 v[4:5], 2, v[12:13]
	v_mov_b32_e32 v2, s9
	v_add_co_u32_e32 v4, vcc, s8, v4
	v_addc_co_u32_e32 v5, vcc, v2, v5, vcc
	global_load_dword v10, v[4:5], off offset:2244
	v_add_u32_e32 v8, 0x220, v0
	v_add_u32_e32 v9, 0x462, v0
	v_mad_u64_u32 v[4:5], s[0:1], s12, v8, 0
	v_mad_u64_u32 v[6:7], s[0:1], s12, v9, 0
	v_mov_b32_e32 v0, v5
	v_mov_b32_e32 v2, v7
	v_mad_u64_u32 v[7:8], s[0:1], s13, v8, v[0:1]
	v_mad_u64_u32 v[8:9], s[0:1], s13, v9, v[2:3]
	v_mov_b32_e32 v5, v7
	v_lshlrev_b64 v[4:5], 2, v[4:5]
	v_mov_b32_e32 v7, v8
	v_lshlrev_b64 v[6:7], 2, v[6:7]
	v_add_co_u32_e32 v4, vcc, v1, v4
	v_addc_co_u32_e32 v5, vcc, v3, v5, vcc
	v_add_co_u32_e32 v0, vcc, v1, v6
	v_addc_co_u32_e32 v1, vcc, v3, v7, vcc
	s_waitcnt vmcnt(0)
	v_mul_f16_sdwa v2, v15, v10 dst_sel:DWORD dst_unused:UNUSED_PAD src0_sel:DWORD src1_sel:WORD_1
	v_mul_f16_sdwa v3, v14, v10 dst_sel:DWORD dst_unused:UNUSED_PAD src0_sel:DWORD src1_sel:WORD_1
	v_fma_f16 v2, v14, v10, v2
	v_fma_f16 v3, v15, v10, -v3
	v_sub_f16_e32 v2, v24, v2
	v_sub_f16_e32 v3, v26, v3
	v_fma_f16 v6, v24, 2.0, -v2
	v_fma_f16 v7, v26, 2.0, -v3
	v_pack_b32_f16 v2, v2, v3
	v_pack_b32_f16 v3, v6, v7
	global_store_dword v[4:5], v3, off
	global_store_dword v[0:1], v2, off
.LBB0_27:
	s_endpgm
	.section	.rodata,"a",@progbits
	.p2align	6, 0x0
	.amdhsa_kernel fft_rtc_back_len1156_factors_17_2_17_2_wgs_204_tpt_68_halfLds_half_ip_CI_sbrr_dirReg
		.amdhsa_group_segment_fixed_size 0
		.amdhsa_private_segment_fixed_size 0
		.amdhsa_kernarg_size 88
		.amdhsa_user_sgpr_count 6
		.amdhsa_user_sgpr_private_segment_buffer 1
		.amdhsa_user_sgpr_dispatch_ptr 0
		.amdhsa_user_sgpr_queue_ptr 0
		.amdhsa_user_sgpr_kernarg_segment_ptr 1
		.amdhsa_user_sgpr_dispatch_id 0
		.amdhsa_user_sgpr_flat_scratch_init 0
		.amdhsa_user_sgpr_private_segment_size 0
		.amdhsa_uses_dynamic_stack 0
		.amdhsa_system_sgpr_private_segment_wavefront_offset 0
		.amdhsa_system_sgpr_workgroup_id_x 1
		.amdhsa_system_sgpr_workgroup_id_y 0
		.amdhsa_system_sgpr_workgroup_id_z 0
		.amdhsa_system_sgpr_workgroup_info 0
		.amdhsa_system_vgpr_workitem_id 0
		.amdhsa_next_free_vgpr 105
		.amdhsa_next_free_sgpr 75
		.amdhsa_reserve_vcc 1
		.amdhsa_reserve_flat_scratch 0
		.amdhsa_float_round_mode_32 0
		.amdhsa_float_round_mode_16_64 0
		.amdhsa_float_denorm_mode_32 3
		.amdhsa_float_denorm_mode_16_64 3
		.amdhsa_dx10_clamp 1
		.amdhsa_ieee_mode 1
		.amdhsa_fp16_overflow 0
		.amdhsa_exception_fp_ieee_invalid_op 0
		.amdhsa_exception_fp_denorm_src 0
		.amdhsa_exception_fp_ieee_div_zero 0
		.amdhsa_exception_fp_ieee_overflow 0
		.amdhsa_exception_fp_ieee_underflow 0
		.amdhsa_exception_fp_ieee_inexact 0
		.amdhsa_exception_int_div_zero 0
	.end_amdhsa_kernel
	.text
.Lfunc_end0:
	.size	fft_rtc_back_len1156_factors_17_2_17_2_wgs_204_tpt_68_halfLds_half_ip_CI_sbrr_dirReg, .Lfunc_end0-fft_rtc_back_len1156_factors_17_2_17_2_wgs_204_tpt_68_halfLds_half_ip_CI_sbrr_dirReg
                                        ; -- End function
	.section	.AMDGPU.csdata,"",@progbits
; Kernel info:
; codeLenInByte = 15732
; NumSgprs: 79
; NumVgprs: 105
; ScratchSize: 0
; MemoryBound: 0
; FloatMode: 240
; IeeeMode: 1
; LDSByteSize: 0 bytes/workgroup (compile time only)
; SGPRBlocks: 9
; VGPRBlocks: 26
; NumSGPRsForWavesPerEU: 79
; NumVGPRsForWavesPerEU: 105
; Occupancy: 2
; WaveLimiterHint : 1
; COMPUTE_PGM_RSRC2:SCRATCH_EN: 0
; COMPUTE_PGM_RSRC2:USER_SGPR: 6
; COMPUTE_PGM_RSRC2:TRAP_HANDLER: 0
; COMPUTE_PGM_RSRC2:TGID_X_EN: 1
; COMPUTE_PGM_RSRC2:TGID_Y_EN: 0
; COMPUTE_PGM_RSRC2:TGID_Z_EN: 0
; COMPUTE_PGM_RSRC2:TIDIG_COMP_CNT: 0
	.type	__hip_cuid_6e8d7fa0c2f3f23b,@object ; @__hip_cuid_6e8d7fa0c2f3f23b
	.section	.bss,"aw",@nobits
	.globl	__hip_cuid_6e8d7fa0c2f3f23b
__hip_cuid_6e8d7fa0c2f3f23b:
	.byte	0                               ; 0x0
	.size	__hip_cuid_6e8d7fa0c2f3f23b, 1

	.ident	"AMD clang version 19.0.0git (https://github.com/RadeonOpenCompute/llvm-project roc-6.4.0 25133 c7fe45cf4b819c5991fe208aaa96edf142730f1d)"
	.section	".note.GNU-stack","",@progbits
	.addrsig
	.addrsig_sym __hip_cuid_6e8d7fa0c2f3f23b
	.amdgpu_metadata
---
amdhsa.kernels:
  - .args:
      - .actual_access:  read_only
        .address_space:  global
        .offset:         0
        .size:           8
        .value_kind:     global_buffer
      - .offset:         8
        .size:           8
        .value_kind:     by_value
      - .actual_access:  read_only
        .address_space:  global
        .offset:         16
        .size:           8
        .value_kind:     global_buffer
      - .actual_access:  read_only
        .address_space:  global
        .offset:         24
        .size:           8
        .value_kind:     global_buffer
      - .offset:         32
        .size:           8
        .value_kind:     by_value
      - .actual_access:  read_only
        .address_space:  global
        .offset:         40
        .size:           8
        .value_kind:     global_buffer
      - .actual_access:  read_only
        .address_space:  global
        .offset:         48
        .size:           8
        .value_kind:     global_buffer
      - .offset:         56
        .size:           4
        .value_kind:     by_value
      - .actual_access:  read_only
        .address_space:  global
        .offset:         64
        .size:           8
        .value_kind:     global_buffer
      - .actual_access:  read_only
        .address_space:  global
        .offset:         72
        .size:           8
        .value_kind:     global_buffer
      - .address_space:  global
        .offset:         80
        .size:           8
        .value_kind:     global_buffer
    .group_segment_fixed_size: 0
    .kernarg_segment_align: 8
    .kernarg_segment_size: 88
    .language:       OpenCL C
    .language_version:
      - 2
      - 0
    .max_flat_workgroup_size: 204
    .name:           fft_rtc_back_len1156_factors_17_2_17_2_wgs_204_tpt_68_halfLds_half_ip_CI_sbrr_dirReg
    .private_segment_fixed_size: 0
    .sgpr_count:     79
    .sgpr_spill_count: 0
    .symbol:         fft_rtc_back_len1156_factors_17_2_17_2_wgs_204_tpt_68_halfLds_half_ip_CI_sbrr_dirReg.kd
    .uniform_work_group_size: 1
    .uses_dynamic_stack: false
    .vgpr_count:     105
    .vgpr_spill_count: 0
    .wavefront_size: 64
amdhsa.target:   amdgcn-amd-amdhsa--gfx906
amdhsa.version:
  - 1
  - 2
...

	.end_amdgpu_metadata
